;; amdgpu-corpus repo=zjin-lcf/HeCBench kind=compiled arch=gfx90a opt=O3
	.text
	.amdgcn_target "amdgcn-amd-amdhsa--gfx90a"
	.amdhsa_code_object_version 6
	.protected	_Z9make_backPK11dsu3_matrixS1_PKmS3_PS_S4_i ; -- Begin function _Z9make_backPK11dsu3_matrixS1_PKmS3_PS_S4_i
	.globl	_Z9make_backPK11dsu3_matrixS1_PKmS3_PS_S4_i
	.p2align	8
	.type	_Z9make_backPK11dsu3_matrixS1_PKmS3_PS_S4_i,@function
_Z9make_backPK11dsu3_matrixS1_PKmS3_PS_S4_i: ; @_Z9make_backPK11dsu3_matrixS1_PKmS3_PS_S4_i
; %bb.0:
	s_load_dword s0, s[4:5], 0x30
	s_load_dword s2, s[4:5], 0x44
	v_mov_b32_e32 v5, 0
	s_waitcnt lgkmcnt(0)
	s_ashr_i32 s1, s0, 31
	s_and_b32 s2, s2, 0xffff
	s_mul_i32 s6, s6, s2
	v_add_u32_e32 v4, s6, v0
	v_cmp_gt_u64_e32 vcc, s[0:1], v[4:5]
	s_and_saveexec_b64 s[0:1], vcc
	s_cbranch_execz .LBB0_3
; %bb.1:
	s_load_dwordx4 s[0:3], s[4:5], 0x20
	s_load_dwordx8 s[8:15], s[4:5], 0x0
	v_lshlrev_b32_e32 v6, 2, v4
	s_movk_i32 s4, 0x90
	v_lshrrev_b32_e32 v7, 30, v4
	s_waitcnt lgkmcnt(0)
	v_pk_mov_b32 v[0:1], s[0:1], s[0:1] op_sel:[0,1]
	v_pk_mov_b32 v[2:3], s[2:3], s[2:3] op_sel:[0,1]
	v_mad_u64_u32 v[0:1], s[0:1], v6, s4, v[0:1]
	v_mad_u64_u32 v[2:3], s[0:1], v6, s4, v[2:3]
	v_mad_u32_u24 v1, v7, s4, v1
	v_mad_u32_u24 v3, v7, s4, v3
	v_lshlrev_b64 v[6:7], 5, v[4:5]
	v_mov_b32_e32 v5, s15
	v_add_co_u32_e32 v4, vcc, s14, v6
	v_addc_co_u32_e32 v5, vcc, v5, v7, vcc
	v_mov_b32_e32 v8, s13
	v_add_co_u32_e32 v6, vcc, s12, v6
	v_addc_co_u32_e32 v7, vcc, v8, v7, vcc
	s_mov_b64 s[2:3], 0
	s_movk_i32 s4, 0x240
.LBB0_2:                                ; =>This Inner Loop Header: Depth=1
	global_load_dwordx2 v[12:13], v[6:7], off
	global_load_dwordx2 v[14:15], v[4:5], off
	s_add_u32 s6, s8, s2
	v_mov_b32_e32 v9, s3
	v_add_co_u32_e64 v10, s[0:1], s2, v0
	s_addc_u32 s7, s9, s3
	v_addc_co_u32_e64 v11, s[0:1], v1, v9, s[0:1]
	v_mov_b32_e32 v16, s3
	v_add_co_u32_e32 v8, vcc, s2, v2
	s_add_u32 s0, s10, s2
	v_addc_co_u32_e32 v9, vcc, v3, v16, vcc
	v_pk_mov_b32 v[16:17], s[6:7], s[6:7] op_sel:[0,1]
	s_addc_u32 s1, s11, s3
	v_pk_mov_b32 v[18:19], s[0:1], s[0:1] op_sel:[0,1]
	v_add_co_u32_e32 v4, vcc, 8, v4
	v_addc_co_u32_e32 v5, vcc, 0, v5, vcc
	s_add_u32 s2, s2, 0x90
	v_add_co_u32_e32 v6, vcc, 8, v6
	s_addc_u32 s3, s3, 0
	v_addc_co_u32_e32 v7, vcc, 0, v7, vcc
	s_cmpk_lg_i32 s2, 0x240
	s_waitcnt vmcnt(1)
	v_mad_u64_u32 v[56:57], s[0:1], v12, s4, v[16:17]
	s_waitcnt vmcnt(0)
	v_mad_u64_u32 v[60:61], s[0:1], v14, s4, v[18:19]
	v_mov_b32_e32 v12, v57
	v_mov_b32_e32 v14, v61
	v_mad_u64_u32 v[12:13], s[0:1], v13, s4, v[12:13]
	v_mad_u64_u32 v[14:15], s[0:1], v15, s4, v[14:15]
	v_mov_b32_e32 v57, v12
	v_mov_b32_e32 v61, v14
	global_load_dwordx4 v[12:15], v[56:57], off
	global_load_dwordx4 v[16:19], v[56:57], off offset:48
	global_load_dwordx4 v[20:23], v[56:57], off offset:96
	;; [unrolled: 1-line block ×10, first 2 shown]
	s_waitcnt vmcnt(10)
	v_xor_b32_e32 v15, 0x80000000, v15
	s_waitcnt vmcnt(9)
	v_xor_b32_e32 v19, 0x80000000, v19
	s_waitcnt vmcnt(8)
	v_xor_b32_e32 v23, 0x80000000, v23
	s_waitcnt vmcnt(7)
	v_xor_b32_e32 v27, 0x80000000, v27
	s_waitcnt vmcnt(6)
	v_xor_b32_e32 v31, 0x80000000, v31
	s_waitcnt vmcnt(5)
	v_xor_b32_e32 v35, 0x80000000, v35
	global_store_dwordx4 v[10:11], v[12:15], off
	global_store_dwordx4 v[10:11], v[16:19], off offset:16
	global_store_dwordx4 v[10:11], v[20:23], off offset:32
	;; [unrolled: 1-line block ×5, first 2 shown]
	global_load_dwordx4 v[12:15], v[60:61], off offset:16
	global_load_dwordx4 v[16:19], v[60:61], off
	global_load_dwordx4 v[20:23], v[60:61], off offset:112
	global_load_dwordx4 v[24:27], v[60:61], off offset:96
	global_load_dwordx4 v[28:31], v[60:61], off offset:64
	global_load_dwordx4 v[32:35], v[60:61], off offset:80
	global_load_dwordx4 v[56:59], v[60:61], off offset:128
	s_waitcnt vmcnt(17)
	v_xor_b32_e32 v39, 0x80000000, v39
	s_waitcnt vmcnt(16)
	v_xor_b32_e32 v43, 0x80000000, v43
	;; [unrolled: 2-line block ×4, first 2 shown]
	v_xor_b32_e32 v51, 0x80000000, v51
	s_waitcnt vmcnt(6)
	v_xor_b32_e32 v15, 0x80000000, v15
	s_waitcnt vmcnt(5)
	;; [unrolled: 2-line block ×7, first 2 shown]
	v_xor_b32_e32 v59, 0x80000000, v59
	global_store_dwordx4 v[10:11], v[36:39], off offset:96
	global_store_dwordx4 v[10:11], v[40:43], off offset:112
	global_store_dwordx4 v[10:11], v[44:47], off offset:128
	global_store_dwordx4 v[8:9], v[16:19], off
	global_store_dwordx4 v[8:9], v[52:55], off offset:16
	global_store_dwordx4 v[8:9], v[24:27], off offset:32
	;; [unrolled: 1-line block ×8, first 2 shown]
	s_cbranch_scc1 .LBB0_2
.LBB0_3:
	s_endpgm
	.section	.rodata,"a",@progbits
	.p2align	6, 0x0
	.amdhsa_kernel _Z9make_backPK11dsu3_matrixS1_PKmS3_PS_S4_i
		.amdhsa_group_segment_fixed_size 0
		.amdhsa_private_segment_fixed_size 0
		.amdhsa_kernarg_size 312
		.amdhsa_user_sgpr_count 6
		.amdhsa_user_sgpr_private_segment_buffer 1
		.amdhsa_user_sgpr_dispatch_ptr 0
		.amdhsa_user_sgpr_queue_ptr 0
		.amdhsa_user_sgpr_kernarg_segment_ptr 1
		.amdhsa_user_sgpr_dispatch_id 0
		.amdhsa_user_sgpr_flat_scratch_init 0
		.amdhsa_user_sgpr_kernarg_preload_length 0
		.amdhsa_user_sgpr_kernarg_preload_offset 0
		.amdhsa_user_sgpr_private_segment_size 0
		.amdhsa_uses_dynamic_stack 0
		.amdhsa_system_sgpr_private_segment_wavefront_offset 0
		.amdhsa_system_sgpr_workgroup_id_x 1
		.amdhsa_system_sgpr_workgroup_id_y 0
		.amdhsa_system_sgpr_workgroup_id_z 0
		.amdhsa_system_sgpr_workgroup_info 0
		.amdhsa_system_vgpr_workitem_id 0
		.amdhsa_next_free_vgpr 62
		.amdhsa_next_free_sgpr 16
		.amdhsa_accum_offset 64
		.amdhsa_reserve_vcc 1
		.amdhsa_reserve_flat_scratch 0
		.amdhsa_float_round_mode_32 0
		.amdhsa_float_round_mode_16_64 0
		.amdhsa_float_denorm_mode_32 3
		.amdhsa_float_denorm_mode_16_64 3
		.amdhsa_dx10_clamp 1
		.amdhsa_ieee_mode 1
		.amdhsa_fp16_overflow 0
		.amdhsa_tg_split 0
		.amdhsa_exception_fp_ieee_invalid_op 0
		.amdhsa_exception_fp_denorm_src 0
		.amdhsa_exception_fp_ieee_div_zero 0
		.amdhsa_exception_fp_ieee_overflow 0
		.amdhsa_exception_fp_ieee_underflow 0
		.amdhsa_exception_fp_ieee_inexact 0
		.amdhsa_exception_int_div_zero 0
	.end_amdhsa_kernel
	.text
.Lfunc_end0:
	.size	_Z9make_backPK11dsu3_matrixS1_PKmS3_PS_S4_i, .Lfunc_end0-_Z9make_backPK11dsu3_matrixS1_PKmS3_PS_S4_i
                                        ; -- End function
	.section	.AMDGPU.csdata,"",@progbits
; Kernel info:
; codeLenInByte = 852
; NumSgprs: 20
; NumVgprs: 62
; NumAgprs: 0
; TotalNumVgprs: 62
; ScratchSize: 0
; MemoryBound: 1
; FloatMode: 240
; IeeeMode: 1
; LDSByteSize: 0 bytes/workgroup (compile time only)
; SGPRBlocks: 2
; VGPRBlocks: 7
; NumSGPRsForWavesPerEU: 20
; NumVGPRsForWavesPerEU: 62
; AccumOffset: 64
; Occupancy: 8
; WaveLimiterHint : 1
; COMPUTE_PGM_RSRC2:SCRATCH_EN: 0
; COMPUTE_PGM_RSRC2:USER_SGPR: 6
; COMPUTE_PGM_RSRC2:TRAP_HANDLER: 0
; COMPUTE_PGM_RSRC2:TGID_X_EN: 1
; COMPUTE_PGM_RSRC2:TGID_Y_EN: 0
; COMPUTE_PGM_RSRC2:TGID_Z_EN: 0
; COMPUTE_PGM_RSRC2:TIDIG_COMP_CNT: 0
; COMPUTE_PGM_RSRC3_GFX90A:ACCUM_OFFSET: 15
; COMPUTE_PGM_RSRC3_GFX90A:TG_SPLIT: 0
	.text
	.protected	_Z6dslashPK11dsu3_matrixS1_S1_S1_PK11dsu3_vectorPS2_PKmS7_S7_S7_i ; -- Begin function _Z6dslashPK11dsu3_matrixS1_S1_S1_PK11dsu3_vectorPS2_PKmS7_S7_S7_i
	.globl	_Z6dslashPK11dsu3_matrixS1_S1_S1_PK11dsu3_vectorPS2_PKmS7_S7_S7_i
	.p2align	8
	.type	_Z6dslashPK11dsu3_matrixS1_S1_S1_PK11dsu3_vectorPS2_PKmS7_S7_S7_i,@function
_Z6dslashPK11dsu3_matrixS1_S1_S1_PK11dsu3_vectorPS2_PKmS7_S7_S7_i: ; @_Z6dslashPK11dsu3_matrixS1_S1_S1_PK11dsu3_vectorPS2_PKmS7_S7_S7_i
; %bb.0:
	s_load_dword s0, s[4:5], 0x50
	s_load_dword s2, s[4:5], 0x64
	v_mov_b32_e32 v1, 0
	s_waitcnt lgkmcnt(0)
	s_ashr_i32 s1, s0, 31
	s_and_b32 s2, s2, 0xffff
	s_mul_i32 s6, s6, s2
	v_add_u32_e32 v0, s6, v0
	v_cmp_gt_u64_e32 vcc, s[0:1], v[0:1]
	s_and_saveexec_b64 s[0:1], vcc
	s_cbranch_execz .LBB1_2
; %bb.1:
	s_load_dwordx4 s[0:3], s[4:5], 0x40
	s_load_dwordx8 s[16:23], s[4:5], 0x0
	s_load_dwordx8 s[8:15], s[4:5], 0x20
	v_lshlrev_b64 v[52:53], 5, v[0:1]
	v_lshlrev_b32_e32 v66, 2, v0
	v_lshrrev_b32_e32 v67, 30, v0
	s_movk_i32 s4, 0x90
	s_waitcnt lgkmcnt(0)
	v_mad_u64_u32 v[50:51], s[6:7], v0, 48, s[10:11]
	v_add_co_u32_e32 v8, vcc, s12, v52
	v_mov_b32_e32 v0, s13
	v_pk_mov_b32 v[2:3], s[16:17], s[16:17] op_sel:[0,1]
	v_addc_co_u32_e32 v9, vcc, v0, v53, vcc
	v_mad_u64_u32 v[30:31], s[6:7], v66, s4, v[2:3]
	global_load_dwordx4 v[0:3], v[8:9], off offset:16
	global_load_dwordx4 v[4:7], v[8:9], off
	v_mad_u32_u24 v31, v67, s4, v31
	s_waitcnt vmcnt(0)
	v_mad_u64_u32 v[24:25], s[6:7], v4, 48, s[8:9]
	v_mov_b32_e32 v4, v25
	v_mad_u64_u32 v[4:5], s[6:7], v5, 48, v[4:5]
	v_mov_b32_e32 v25, v4
	global_load_dwordx4 v[20:23], v[30:31], off offset:48
	global_load_dwordx4 v[26:29], v[30:31], off offset:32
	;; [unrolled: 1-line block ×3, first 2 shown]
	global_load_dwordx4 v[36:39], v[30:31], off
	global_load_dwordx4 v[8:11], v[24:25], off offset:32
	global_load_dwordx4 v[12:15], v[24:25], off offset:16
	global_load_dwordx4 v[16:19], v[24:25], off
	s_waitcnt vmcnt(0)
	v_mul_f64 v[4:5], v[38:39], v[18:19]
	v_fma_f64 v[4:5], v[36:37], v[16:17], -v[4:5]
	v_mul_f64 v[24:25], v[36:37], v[18:19]
	v_mul_f64 v[36:37], v[34:35], v[14:15]
	v_fmac_f64_e32 v[24:25], v[16:17], v[38:39]
	v_fma_f64 v[36:37], v[32:33], v[12:13], -v[36:37]
	v_mul_f64 v[32:33], v[32:33], v[14:15]
	v_add_f64 v[24:25], v[24:25], 0
	v_fmac_f64_e32 v[32:33], v[12:13], v[34:35]
	v_add_f64 v[4:5], v[4:5], 0
	v_add_f64 v[32:33], v[24:25], v[32:33]
	v_mul_f64 v[24:25], v[28:29], v[10:11]
	v_add_f64 v[4:5], v[4:5], v[36:37]
	v_fma_f64 v[24:25], v[26:27], v[8:9], -v[24:25]
	v_add_f64 v[24:25], v[4:5], v[24:25]
	v_mul_f64 v[4:5], v[26:27], v[10:11]
	v_fmac_f64_e32 v[4:5], v[8:9], v[28:29]
	v_add_f64 v[26:27], v[32:33], v[4:5]
	v_mul_f64 v[4:5], v[18:19], v[22:23]
	v_mul_f64 v[22:23], v[16:17], v[22:23]
	v_fmac_f64_e32 v[22:23], v[18:19], v[20:21]
	v_fma_f64 v[4:5], v[16:17], v[20:21], -v[4:5]
	v_add_f64 v[28:29], v[22:23], 0
	global_load_dwordx4 v[20:23], v[30:31], off offset:112
	global_load_dwordx4 v[32:35], v[30:31], off offset:96
	;; [unrolled: 1-line block ×4, first 2 shown]
	v_add_f64 v[4:5], v[4:5], 0
	s_waitcnt vmcnt(0)
	v_mul_f64 v[44:45], v[14:15], v[38:39]
	v_mul_f64 v[38:39], v[12:13], v[38:39]
	v_fma_f64 v[44:45], v[12:13], v[36:37], -v[44:45]
	v_fmac_f64_e32 v[38:39], v[14:15], v[36:37]
	v_mul_f64 v[36:37], v[10:11], v[42:43]
	v_add_f64 v[4:5], v[4:5], v[44:45]
	v_fma_f64 v[36:37], v[8:9], v[40:41], -v[36:37]
	v_add_f64 v[28:29], v[28:29], v[38:39]
	v_add_f64 v[38:39], v[4:5], v[36:37]
	v_mul_f64 v[4:5], v[8:9], v[42:43]
	v_fmac_f64_e32 v[4:5], v[10:11], v[40:41]
	v_add_f64 v[40:41], v[28:29], v[4:5]
	v_mul_f64 v[4:5], v[18:19], v[34:35]
	v_fma_f64 v[4:5], v[16:17], v[32:33], -v[4:5]
	v_mul_f64 v[16:17], v[16:17], v[34:35]
	v_fmac_f64_e32 v[16:17], v[18:19], v[32:33]
	v_mul_f64 v[18:19], v[14:15], v[22:23]
	v_fma_f64 v[18:19], v[12:13], v[20:21], -v[18:19]
	v_mul_f64 v[12:13], v[12:13], v[22:23]
	v_add_f64 v[4:5], v[4:5], 0
	v_add_f64 v[16:17], v[16:17], 0
	v_fmac_f64_e32 v[12:13], v[14:15], v[20:21]
	v_add_f64 v[4:5], v[4:5], v[18:19]
	v_add_f64 v[28:29], v[16:17], v[12:13]
	global_load_dwordx4 v[16:19], v[30:31], off offset:176
	global_load_dwordx4 v[20:23], v[30:31], off offset:160
	global_load_dwordx4 v[42:45], v[30:31], off offset:144
	global_load_dwordx4 v[12:15], v[30:31], off offset:128
	s_waitcnt vmcnt(0)
	v_mul_f64 v[32:33], v[10:11], v[14:15]
	v_fma_f64 v[32:33], v[8:9], v[12:13], -v[32:33]
	v_add_f64 v[34:35], v[4:5], v[32:33]
	v_mul_f64 v[4:5], v[8:9], v[14:15]
	v_fmac_f64_e32 v[4:5], v[10:11], v[12:13]
	v_add_f64 v[36:37], v[28:29], v[4:5]
	v_mad_u64_u32 v[28:29], s[6:7], v6, 48, s[8:9]
	v_mov_b32_e32 v4, v29
	v_mad_u64_u32 v[4:5], s[6:7], v7, 48, v[4:5]
	v_mov_b32_e32 v29, v4
	global_load_dwordx4 v[4:7], v[28:29], off offset:32
	global_load_dwordx4 v[8:11], v[28:29], off offset:16
	global_load_dwordx4 v[12:15], v[28:29], off
	s_waitcnt vmcnt(0)
	v_mul_f64 v[28:29], v[44:45], v[14:15]
	v_fma_f64 v[28:29], v[42:43], v[12:13], -v[28:29]
	v_mul_f64 v[32:33], v[42:43], v[14:15]
	v_mul_f64 v[42:43], v[22:23], v[10:11]
	v_fma_f64 v[42:43], v[20:21], v[8:9], -v[42:43]
	v_mul_f64 v[20:21], v[20:21], v[10:11]
	v_fmac_f64_e32 v[32:33], v[12:13], v[44:45]
	v_fmac_f64_e32 v[20:21], v[8:9], v[22:23]
	v_mul_f64 v[22:23], v[18:19], v[6:7]
	v_add_f64 v[28:29], v[28:29], 0
	v_add_f64 v[32:33], v[32:33], 0
	v_fma_f64 v[22:23], v[16:17], v[4:5], -v[22:23]
	v_mul_f64 v[16:17], v[16:17], v[6:7]
	v_add_f64 v[28:29], v[28:29], v[42:43]
	v_add_f64 v[20:21], v[32:33], v[20:21]
	v_fmac_f64_e32 v[16:17], v[4:5], v[18:19]
	v_add_f64 v[22:23], v[28:29], v[22:23]
	v_add_f64 v[16:17], v[20:21], v[16:17]
	;; [unrolled: 1-line block ×4, first 2 shown]
	global_load_dwordx4 v[16:19], v[30:31], off offset:240
	global_load_dwordx4 v[20:23], v[30:31], off offset:224
	;; [unrolled: 1-line block ×4, first 2 shown]
	s_waitcnt vmcnt(0)
	v_mul_f64 v[46:47], v[14:15], v[44:45]
	v_mul_f64 v[44:45], v[12:13], v[44:45]
	v_fmac_f64_e32 v[44:45], v[14:15], v[42:43]
	v_fma_f64 v[46:47], v[12:13], v[42:43], -v[46:47]
	v_add_f64 v[42:43], v[44:45], 0
	v_mul_f64 v[44:45], v[10:11], v[26:27]
	v_mul_f64 v[26:27], v[8:9], v[26:27]
	v_fmac_f64_e32 v[26:27], v[10:11], v[24:25]
	v_add_f64 v[46:47], v[46:47], 0
	v_fma_f64 v[44:45], v[8:9], v[24:25], -v[44:45]
	v_add_f64 v[24:25], v[42:43], v[26:27]
	v_mul_f64 v[26:27], v[6:7], v[22:23]
	v_mul_f64 v[22:23], v[4:5], v[22:23]
	v_add_f64 v[44:45], v[46:47], v[44:45]
	v_fma_f64 v[26:27], v[4:5], v[20:21], -v[26:27]
	v_fmac_f64_e32 v[22:23], v[6:7], v[20:21]
	v_add_f64 v[26:27], v[44:45], v[26:27]
	v_add_f64 v[20:21], v[24:25], v[22:23]
	;; [unrolled: 1-line block ×4, first 2 shown]
	v_mul_f64 v[20:21], v[14:15], v[18:19]
	v_fma_f64 v[20:21], v[12:13], v[16:17], -v[20:21]
	v_mul_f64 v[12:13], v[12:13], v[18:19]
	v_fmac_f64_e32 v[12:13], v[14:15], v[16:17]
	v_add_f64 v[24:25], v[20:21], 0
	v_add_f64 v[44:45], v[12:13], 0
	global_load_dwordx4 v[12:15], v[30:31], off offset:304
	global_load_dwordx4 v[16:19], v[30:31], off offset:288
	;; [unrolled: 1-line block ×4, first 2 shown]
	s_waitcnt vmcnt(0)
	v_mul_f64 v[46:47], v[10:11], v[42:43]
	v_fma_f64 v[46:47], v[8:9], v[40:41], -v[46:47]
	v_mul_f64 v[8:9], v[8:9], v[42:43]
	v_fmac_f64_e32 v[8:9], v[10:11], v[40:41]
	v_mul_f64 v[10:11], v[6:7], v[22:23]
	v_fma_f64 v[10:11], v[4:5], v[20:21], -v[10:11]
	v_mul_f64 v[4:5], v[4:5], v[22:23]
	v_add_f64 v[8:9], v[44:45], v[8:9]
	v_fmac_f64_e32 v[4:5], v[6:7], v[20:21]
	v_add_f64 v[4:5], v[8:9], v[4:5]
	v_add_f64 v[54:55], v[4:5], v[36:37]
	v_mad_u64_u32 v[4:5], s[6:7], v0, 48, s[8:9]
	v_mov_b32_e32 v0, v5
	v_add_f64 v[24:25], v[24:25], v[46:47]
	v_mad_u64_u32 v[0:1], s[6:7], v1, 48, v[0:1]
	v_add_f64 v[10:11], v[24:25], v[10:11]
	v_mov_b32_e32 v5, v0
	v_add_f64 v[48:49], v[34:35], v[10:11]
	global_load_dwordx4 v[34:37], v[4:5], off offset:32
	global_load_dwordx4 v[40:43], v[4:5], off offset:16
	global_load_dwordx4 v[44:47], v[4:5], off
	s_waitcnt vmcnt(1)
	v_mul_f64 v[6:7], v[14:15], v[42:43]
	s_waitcnt vmcnt(0)
	v_mul_f64 v[0:1], v[18:19], v[46:47]
	v_fma_f64 v[0:1], v[16:17], v[44:45], -v[0:1]
	v_add_f64 v[0:1], v[0:1], 0
	v_mul_f64 v[4:5], v[16:17], v[46:47]
	v_fma_f64 v[6:7], v[12:13], v[40:41], -v[6:7]
	v_fmac_f64_e32 v[4:5], v[44:45], v[18:19]
	v_add_f64 v[0:1], v[0:1], v[6:7]
	v_mul_f64 v[6:7], v[12:13], v[42:43]
	v_add_f64 v[4:5], v[4:5], 0
	v_fmac_f64_e32 v[6:7], v[40:41], v[14:15]
	v_add_f64 v[20:21], v[4:5], v[6:7]
	global_load_dwordx4 v[4:7], v[30:31], off offset:368
	global_load_dwordx4 v[8:11], v[30:31], off offset:352
	;; [unrolled: 1-line block ×4, first 2 shown]
	s_waitcnt vmcnt(0)
	v_mul_f64 v[22:23], v[18:19], v[36:37]
	v_fma_f64 v[22:23], v[16:17], v[34:35], -v[22:23]
	v_add_f64 v[0:1], v[0:1], v[22:23]
	v_add_f64 v[22:23], v[28:29], v[0:1]
	v_mul_f64 v[0:1], v[46:47], v[14:15]
	v_mul_f64 v[14:15], v[44:45], v[14:15]
	v_fmac_f64_e32 v[14:15], v[46:47], v[12:13]
	v_fma_f64 v[0:1], v[44:45], v[12:13], -v[0:1]
	v_add_f64 v[12:13], v[14:15], 0
	v_mul_f64 v[14:15], v[42:43], v[10:11]
	v_mul_f64 v[10:11], v[40:41], v[10:11]
	v_fmac_f64_e32 v[10:11], v[42:43], v[8:9]
	v_mul_f64 v[16:17], v[16:17], v[36:37]
	v_fma_f64 v[14:15], v[40:41], v[8:9], -v[14:15]
	v_add_f64 v[8:9], v[12:13], v[10:11]
	v_mul_f64 v[10:11], v[36:37], v[6:7]
	v_mul_f64 v[6:7], v[34:35], v[6:7]
	v_fmac_f64_e32 v[16:17], v[34:35], v[18:19]
	v_add_f64 v[0:1], v[0:1], 0
	v_fmac_f64_e32 v[6:7], v[36:37], v[4:5]
	v_add_f64 v[16:17], v[20:21], v[16:17]
	v_add_f64 v[0:1], v[0:1], v[14:15]
	v_fma_f64 v[10:11], v[34:35], v[4:5], -v[10:11]
	v_add_f64 v[4:5], v[8:9], v[6:7]
	v_add_f64 v[24:25], v[16:17], v[32:33]
	;; [unrolled: 1-line block ×4, first 2 shown]
	global_load_dwordx4 v[4:7], v[30:31], off offset:432
	global_load_dwordx4 v[10:13], v[30:31], off offset:416
	;; [unrolled: 1-line block ×4, first 2 shown]
	v_add_f64 v[8:9], v[26:27], v[0:1]
	v_mad_u64_u32 v[26:27], s[6:7], v2, 48, s[8:9]
	s_waitcnt vmcnt(0)
	v_mul_f64 v[0:1], v[46:47], v[20:21]
	v_mul_f64 v[20:21], v[44:45], v[20:21]
	v_fmac_f64_e32 v[20:21], v[46:47], v[18:19]
	v_fma_f64 v[0:1], v[44:45], v[18:19], -v[0:1]
	v_add_f64 v[18:19], v[20:21], 0
	v_mul_f64 v[20:21], v[42:43], v[16:17]
	v_mul_f64 v[16:17], v[40:41], v[16:17]
	v_fmac_f64_e32 v[16:17], v[42:43], v[14:15]
	v_add_f64 v[0:1], v[0:1], 0
	v_fma_f64 v[20:21], v[40:41], v[14:15], -v[20:21]
	v_add_f64 v[14:15], v[18:19], v[16:17]
	v_mul_f64 v[16:17], v[36:37], v[12:13]
	v_add_f64 v[0:1], v[0:1], v[20:21]
	v_fma_f64 v[16:17], v[34:35], v[10:11], -v[16:17]
	v_mul_f64 v[12:13], v[34:35], v[12:13]
	v_add_f64 v[0:1], v[0:1], v[16:17]
	v_fmac_f64_e32 v[12:13], v[36:37], v[10:11]
	v_add_f64 v[12:13], v[14:15], v[12:13]
	v_add_f64 v[10:11], v[48:49], v[0:1]
	v_mov_b32_e32 v0, v27
	v_add_f64 v[12:13], v[12:13], v[54:55]
	v_mad_u64_u32 v[0:1], s[6:7], v3, 48, v[0:1]
	global_store_dwordx4 v[50:51], v[10:13], off offset:32
	v_mov_b32_e32 v27, v0
	global_load_dwordx4 v[0:3], v[26:27], off offset:32
	global_load_dwordx4 v[14:17], v[26:27], off offset:16
	global_load_dwordx4 v[18:21], v[26:27], off
	s_waitcnt vmcnt(0)
	v_mul_f64 v[26:27], v[6:7], v[20:21]
	v_fma_f64 v[26:27], v[4:5], v[18:19], -v[26:27]
	v_mul_f64 v[4:5], v[4:5], v[20:21]
	v_fmac_f64_e32 v[4:5], v[18:19], v[6:7]
	v_add_f64 v[42:43], v[26:27], 0
	v_add_f64 v[44:45], v[4:5], 0
	global_load_dwordx4 v[4:7], v[30:31], off offset:496
	global_load_dwordx4 v[26:29], v[30:31], off offset:480
	;; [unrolled: 1-line block ×4, first 2 shown]
	s_waitcnt vmcnt(0)
	v_mul_f64 v[46:47], v[40:41], v[16:17]
	v_fma_f64 v[46:47], v[38:39], v[14:15], -v[46:47]
	v_mul_f64 v[38:39], v[38:39], v[16:17]
	v_fmac_f64_e32 v[38:39], v[14:15], v[40:41]
	v_mul_f64 v[40:41], v[36:37], v[2:3]
	v_fma_f64 v[40:41], v[34:35], v[0:1], -v[40:41]
	v_mul_f64 v[34:35], v[34:35], v[2:3]
	v_add_f64 v[42:43], v[42:43], v[46:47]
	v_add_f64 v[38:39], v[44:45], v[38:39]
	v_fmac_f64_e32 v[34:35], v[0:1], v[36:37]
	v_add_f64 v[40:41], v[42:43], v[40:41]
	v_add_f64 v[34:35], v[38:39], v[34:35]
	;; [unrolled: 1-line block ×4, first 2 shown]
	global_store_dwordx4 v[50:51], v[22:25], off
	s_nop 0
	v_mul_f64 v[22:23], v[20:21], v[28:29]
	v_mul_f64 v[24:25], v[18:19], v[28:29]
	v_fma_f64 v[22:23], v[18:19], v[26:27], -v[22:23]
	v_fmac_f64_e32 v[24:25], v[20:21], v[26:27]
	v_mul_f64 v[26:27], v[16:17], v[6:7]
	v_mul_f64 v[6:7], v[14:15], v[6:7]
	v_add_f64 v[22:23], v[22:23], 0
	v_add_f64 v[24:25], v[24:25], 0
	v_fma_f64 v[26:27], v[14:15], v[4:5], -v[26:27]
	v_fmac_f64_e32 v[6:7], v[16:17], v[4:5]
	v_add_f64 v[38:39], v[22:23], v[26:27]
	v_add_f64 v[40:41], v[24:25], v[6:7]
	global_load_dwordx4 v[22:25], v[30:31], off offset:560
	global_load_dwordx4 v[26:29], v[30:31], off offset:544
	;; [unrolled: 1-line block ×4, first 2 shown]
	s_waitcnt vmcnt(0)
	v_mul_f64 v[30:31], v[2:3], v[6:7]
	v_mul_f64 v[6:7], v[0:1], v[6:7]
	v_fma_f64 v[30:31], v[0:1], v[4:5], -v[30:31]
	v_fmac_f64_e32 v[6:7], v[2:3], v[4:5]
	v_add_f64 v[30:31], v[38:39], v[30:31]
	v_add_f64 v[4:5], v[40:41], v[6:7]
	;; [unrolled: 1-line block ×4, first 2 shown]
	v_mul_f64 v[4:5], v[20:21], v[36:37]
	v_fma_f64 v[4:5], v[18:19], v[34:35], -v[4:5]
	v_mul_f64 v[18:19], v[18:19], v[36:37]
	v_fmac_f64_e32 v[18:19], v[20:21], v[34:35]
	v_mul_f64 v[20:21], v[16:17], v[28:29]
	v_fma_f64 v[20:21], v[14:15], v[26:27], -v[20:21]
	v_mul_f64 v[14:15], v[14:15], v[28:29]
	v_fmac_f64_e32 v[14:15], v[16:17], v[26:27]
	v_mul_f64 v[16:17], v[2:3], v[24:25]
	v_add_f64 v[4:5], v[4:5], 0
	v_add_f64 v[18:19], v[18:19], 0
	v_fma_f64 v[16:17], v[0:1], v[22:23], -v[16:17]
	v_mul_f64 v[0:1], v[0:1], v[24:25]
	v_add_f64 v[4:5], v[4:5], v[20:21]
	v_add_f64 v[14:15], v[18:19], v[14:15]
	v_fmac_f64_e32 v[0:1], v[2:3], v[22:23]
	v_add_f64 v[4:5], v[4:5], v[16:17]
	v_add_f64 v[0:1], v[14:15], v[0:1]
	;; [unrolled: 1-line block ×4, first 2 shown]
	v_pk_mov_b32 v[0:1], s[18:19], s[18:19] op_sel:[0,1]
	global_store_dwordx4 v[50:51], v[10:13], off offset:32
	global_store_dwordx4 v[50:51], v[6:9], off offset:16
	v_mad_u64_u32 v[10:11], s[6:7], v66, s4, v[0:1]
	v_add_co_u32_e32 v0, vcc, s0, v52
	v_mov_b32_e32 v1, s1
	v_addc_co_u32_e32 v1, vcc, v1, v53, vcc
	global_load_dwordx4 v[14:17], v[0:1], off offset:16
	global_load_dwordx4 v[2:5], v[0:1], off
	v_mad_u32_u24 v11, v67, s4, v11
	s_waitcnt vmcnt(0)
	v_mad_u64_u32 v[42:43], s[0:1], v2, 48, s[8:9]
	v_mov_b32_e32 v0, v43
	v_mad_u64_u32 v[0:1], s[0:1], v3, 48, v[0:1]
	v_mov_b32_e32 v43, v0
	global_load_dwordx4 v[0:3], v[10:11], off offset:48
	global_load_dwordx4 v[18:21], v[10:11], off offset:32
	;; [unrolled: 1-line block ×3, first 2 shown]
	global_load_dwordx4 v[26:29], v[10:11], off
	global_load_dwordx4 v[30:33], v[42:43], off offset:32
	global_load_dwordx4 v[34:37], v[42:43], off offset:16
	global_load_dwordx4 v[38:41], v[42:43], off
	s_waitcnt vmcnt(0)
	v_mul_f64 v[42:43], v[28:29], v[40:41]
	v_fma_f64 v[42:43], v[26:27], v[38:39], -v[42:43]
	v_mul_f64 v[26:27], v[26:27], v[40:41]
	v_fmac_f64_e32 v[26:27], v[38:39], v[28:29]
	v_mul_f64 v[28:29], v[24:25], v[36:37]
	v_fma_f64 v[28:29], v[22:23], v[34:35], -v[28:29]
	v_mul_f64 v[22:23], v[22:23], v[36:37]
	v_fmac_f64_e32 v[22:23], v[34:35], v[24:25]
	v_mul_f64 v[24:25], v[20:21], v[32:33]
	v_add_f64 v[26:27], v[26:27], 0
	v_fma_f64 v[24:25], v[18:19], v[30:31], -v[24:25]
	v_mul_f64 v[18:19], v[18:19], v[32:33]
	v_add_f64 v[22:23], v[26:27], v[22:23]
	v_fmac_f64_e32 v[18:19], v[30:31], v[20:21]
	v_add_f64 v[42:43], v[42:43], 0
	v_add_f64 v[48:49], v[22:23], v[18:19]
	v_mul_f64 v[18:19], v[40:41], v[2:3]
	v_mul_f64 v[2:3], v[38:39], v[2:3]
	v_add_f64 v[28:29], v[42:43], v[28:29]
	v_fma_f64 v[18:19], v[38:39], v[0:1], -v[18:19]
	v_fmac_f64_e32 v[2:3], v[40:41], v[0:1]
	v_add_f64 v[46:47], v[28:29], v[24:25]
	v_add_f64 v[42:43], v[18:19], 0
	;; [unrolled: 1-line block ×3, first 2 shown]
	global_load_dwordx4 v[0:3], v[10:11], off offset:112
	global_load_dwordx4 v[18:21], v[10:11], off offset:96
	;; [unrolled: 1-line block ×4, first 2 shown]
	s_waitcnt vmcnt(0)
	v_mul_f64 v[54:55], v[36:37], v[28:29]
	v_mul_f64 v[28:29], v[34:35], v[28:29]
	v_fmac_f64_e32 v[28:29], v[36:37], v[26:27]
	v_fma_f64 v[54:55], v[34:35], v[26:27], -v[54:55]
	v_add_f64 v[26:27], v[44:45], v[28:29]
	v_mul_f64 v[28:29], v[32:33], v[24:25]
	v_mul_f64 v[24:25], v[30:31], v[24:25]
	v_fma_f64 v[28:29], v[30:31], v[22:23], -v[28:29]
	v_fmac_f64_e32 v[24:25], v[32:33], v[22:23]
	v_mul_f64 v[22:23], v[40:41], v[20:21]
	v_mul_f64 v[20:21], v[38:39], v[20:21]
	v_fmac_f64_e32 v[20:21], v[40:41], v[18:19]
	v_fma_f64 v[22:23], v[38:39], v[18:19], -v[22:23]
	v_add_f64 v[18:19], v[20:21], 0
	v_mul_f64 v[20:21], v[36:37], v[2:3]
	v_mul_f64 v[2:3], v[34:35], v[2:3]
	v_add_f64 v[42:43], v[42:43], v[54:55]
	v_add_f64 v[22:23], v[22:23], 0
	v_fma_f64 v[20:21], v[34:35], v[0:1], -v[20:21]
	v_fmac_f64_e32 v[2:3], v[36:37], v[0:1]
	v_add_f64 v[42:43], v[42:43], v[28:29]
	v_add_f64 v[44:45], v[26:27], v[24:25]
	;; [unrolled: 1-line block ×4, first 2 shown]
	global_load_dwordx4 v[0:3], v[10:11], off offset:176
	global_load_dwordx4 v[18:21], v[10:11], off offset:160
	;; [unrolled: 1-line block ×4, first 2 shown]
	v_mad_u64_u32 v[54:55], s[0:1], v4, 48, s[8:9]
	v_mov_b32_e32 v4, v55
	v_mad_u64_u32 v[4:5], s[0:1], v5, 48, v[4:5]
	v_mov_b32_e32 v55, v4
	s_waitcnt vmcnt(0)
	v_mul_f64 v[36:37], v[32:33], v[28:29]
	v_mul_f64 v[28:29], v[30:31], v[28:29]
	v_fma_f64 v[36:37], v[30:31], v[26:27], -v[36:37]
	v_fmac_f64_e32 v[28:29], v[32:33], v[26:27]
	v_add_f64 v[38:39], v[38:39], v[36:37]
	v_add_f64 v[40:41], v[34:35], v[28:29]
	global_load_dwordx4 v[26:29], v[54:55], off offset:32
	global_load_dwordx4 v[30:33], v[54:55], off offset:16
	global_load_dwordx4 v[34:37], v[54:55], off
	s_waitcnt vmcnt(0)
	v_mul_f64 v[4:5], v[24:25], v[36:37]
	v_fma_f64 v[4:5], v[22:23], v[34:35], -v[4:5]
	v_mul_f64 v[22:23], v[22:23], v[36:37]
	v_fmac_f64_e32 v[22:23], v[34:35], v[24:25]
	v_mul_f64 v[24:25], v[20:21], v[32:33]
	v_fma_f64 v[24:25], v[18:19], v[30:31], -v[24:25]
	v_mul_f64 v[18:19], v[18:19], v[32:33]
	v_fmac_f64_e32 v[18:19], v[30:31], v[20:21]
	v_mul_f64 v[20:21], v[2:3], v[28:29]
	v_add_f64 v[4:5], v[4:5], 0
	v_add_f64 v[22:23], v[22:23], 0
	v_fma_f64 v[20:21], v[0:1], v[26:27], -v[20:21]
	v_mul_f64 v[0:1], v[0:1], v[28:29]
	v_add_f64 v[4:5], v[4:5], v[24:25]
	v_add_f64 v[18:19], v[22:23], v[18:19]
	v_fmac_f64_e32 v[0:1], v[26:27], v[2:3]
	v_add_f64 v[4:5], v[4:5], v[20:21]
	v_add_f64 v[0:1], v[18:19], v[0:1]
	;; [unrolled: 1-line block ×4, first 2 shown]
	global_load_dwordx4 v[0:3], v[10:11], off offset:240
	global_load_dwordx4 v[18:21], v[10:11], off offset:224
	;; [unrolled: 1-line block ×4, first 2 shown]
	s_waitcnt vmcnt(0)
	v_mul_f64 v[48:49], v[36:37], v[56:57]
	v_mul_f64 v[56:57], v[34:35], v[56:57]
	v_fmac_f64_e32 v[56:57], v[36:37], v[54:55]
	v_fma_f64 v[48:49], v[34:35], v[54:55], -v[48:49]
	v_add_f64 v[54:55], v[56:57], 0
	v_mul_f64 v[56:57], v[32:33], v[24:25]
	v_mul_f64 v[24:25], v[30:31], v[24:25]
	v_fmac_f64_e32 v[24:25], v[32:33], v[22:23]
	v_fma_f64 v[56:57], v[30:31], v[22:23], -v[56:57]
	v_add_f64 v[22:23], v[54:55], v[24:25]
	v_mul_f64 v[24:25], v[28:29], v[20:21]
	v_mul_f64 v[20:21], v[26:27], v[20:21]
	v_fmac_f64_e32 v[20:21], v[28:29], v[18:19]
	v_add_f64 v[48:49], v[48:49], 0
	v_fma_f64 v[24:25], v[26:27], v[18:19], -v[24:25]
	v_add_f64 v[18:19], v[22:23], v[20:21]
	v_add_f64 v[48:49], v[48:49], v[56:57]
	;; [unrolled: 1-line block ×3, first 2 shown]
	v_mul_f64 v[18:19], v[36:37], v[2:3]
	v_mul_f64 v[2:3], v[34:35], v[2:3]
	v_add_f64 v[24:25], v[48:49], v[24:25]
	v_fma_f64 v[18:19], v[34:35], v[0:1], -v[18:19]
	v_fmac_f64_e32 v[2:3], v[36:37], v[0:1]
	v_add_f64 v[42:43], v[42:43], v[24:25]
	v_add_f64 v[48:49], v[18:19], 0
	;; [unrolled: 1-line block ×3, first 2 shown]
	global_load_dwordx4 v[0:3], v[10:11], off offset:304
	global_load_dwordx4 v[18:21], v[10:11], off offset:288
	global_load_dwordx4 v[22:25], v[10:11], off offset:272
	global_load_dwordx4 v[34:37], v[10:11], off offset:256
	s_waitcnt vmcnt(0)
	v_mul_f64 v[56:57], v[32:33], v[36:37]
	v_fma_f64 v[56:57], v[30:31], v[34:35], -v[56:57]
	v_mul_f64 v[30:31], v[30:31], v[36:37]
	v_fmac_f64_e32 v[30:31], v[32:33], v[34:35]
	v_mul_f64 v[32:33], v[28:29], v[24:25]
	v_fma_f64 v[32:33], v[26:27], v[22:23], -v[32:33]
	v_mul_f64 v[24:25], v[26:27], v[24:25]
	v_mad_u64_u32 v[26:27], s[0:1], v14, 48, s[8:9]
	v_mov_b32_e32 v14, v27
	v_add_f64 v[48:49], v[48:49], v[56:57]
	v_add_f64 v[30:31], v[54:55], v[30:31]
	v_fmac_f64_e32 v[24:25], v[28:29], v[22:23]
	v_mad_u64_u32 v[14:15], s[0:1], v15, 48, v[14:15]
	v_add_f64 v[32:33], v[48:49], v[32:33]
	v_add_f64 v[22:23], v[30:31], v[24:25]
	v_mov_b32_e32 v27, v14
	v_add_f64 v[48:49], v[38:39], v[32:33]
	v_add_f64 v[54:55], v[40:41], v[22:23]
	global_load_dwordx4 v[22:25], v[26:27], off offset:32
	global_load_dwordx4 v[30:33], v[26:27], off offset:16
	global_load_dwordx4 v[34:37], v[26:27], off
	s_waitcnt vmcnt(0)
	v_mul_f64 v[14:15], v[20:21], v[36:37]
	v_fma_f64 v[14:15], v[18:19], v[34:35], -v[14:15]
	v_mul_f64 v[18:19], v[18:19], v[36:37]
	v_fmac_f64_e32 v[18:19], v[34:35], v[20:21]
	v_mul_f64 v[20:21], v[2:3], v[32:33]
	v_fma_f64 v[20:21], v[0:1], v[30:31], -v[20:21]
	v_mul_f64 v[0:1], v[0:1], v[32:33]
	v_add_f64 v[14:15], v[14:15], 0
	v_add_f64 v[18:19], v[18:19], 0
	v_fmac_f64_e32 v[0:1], v[30:31], v[2:3]
	v_add_f64 v[14:15], v[14:15], v[20:21]
	v_add_f64 v[56:57], v[18:19], v[0:1]
	global_load_dwordx4 v[18:21], v[10:11], off offset:368
	global_load_dwordx4 v[26:29], v[10:11], off offset:352
	;; [unrolled: 1-line block ×4, first 2 shown]
	s_waitcnt vmcnt(0)
	v_mul_f64 v[58:59], v[2:3], v[24:25]
	v_fma_f64 v[58:59], v[0:1], v[22:23], -v[58:59]
	v_mul_f64 v[0:1], v[0:1], v[24:25]
	v_fmac_f64_e32 v[0:1], v[22:23], v[2:3]
	v_add_f64 v[2:3], v[56:57], v[0:1]
	v_add_f64 v[14:15], v[14:15], v[58:59]
	;; [unrolled: 1-line block ×3, first 2 shown]
	v_mul_f64 v[2:3], v[36:37], v[40:41]
	v_add_f64 v[0:1], v[4:5], v[14:15]
	v_fma_f64 v[2:3], v[34:35], v[38:39], -v[2:3]
	v_mul_f64 v[14:15], v[32:33], v[28:29]
	v_add_f64 v[2:3], v[2:3], 0
	v_mul_f64 v[4:5], v[34:35], v[40:41]
	v_fma_f64 v[14:15], v[30:31], v[26:27], -v[14:15]
	v_fmac_f64_e32 v[4:5], v[36:37], v[38:39]
	v_add_f64 v[2:3], v[2:3], v[14:15]
	v_mul_f64 v[14:15], v[30:31], v[28:29]
	v_add_f64 v[4:5], v[4:5], 0
	v_fmac_f64_e32 v[14:15], v[32:33], v[26:27]
	v_add_f64 v[4:5], v[4:5], v[14:15]
	v_mul_f64 v[14:15], v[24:25], v[20:21]
	v_fma_f64 v[14:15], v[22:23], v[18:19], -v[14:15]
	v_add_f64 v[2:3], v[2:3], v[14:15]
	v_mul_f64 v[14:15], v[22:23], v[20:21]
	v_fmac_f64_e32 v[14:15], v[24:25], v[18:19]
	v_add_f64 v[4:5], v[4:5], v[14:15]
	v_add_f64 v[58:59], v[42:43], v[2:3]
	;; [unrolled: 1-line block ×3, first 2 shown]
	global_load_dwordx4 v[26:29], v[10:11], off offset:432
	global_load_dwordx4 v[2:5], v[10:11], off offset:416
	;; [unrolled: 1-line block ×4, first 2 shown]
	v_mad_u64_u32 v[46:47], s[0:1], v16, 48, s[8:9]
	s_waitcnt vmcnt(0)
	v_mul_f64 v[14:15], v[36:37], v[40:41]
	v_fma_f64 v[14:15], v[34:35], v[38:39], -v[14:15]
	v_mul_f64 v[34:35], v[34:35], v[40:41]
	v_fmac_f64_e32 v[34:35], v[36:37], v[38:39]
	v_mul_f64 v[36:37], v[32:33], v[20:21]
	v_mul_f64 v[20:21], v[30:31], v[20:21]
	v_add_f64 v[34:35], v[34:35], 0
	v_fmac_f64_e32 v[20:21], v[32:33], v[18:19]
	v_add_f64 v[14:15], v[14:15], 0
	v_fma_f64 v[36:37], v[30:31], v[18:19], -v[36:37]
	v_add_f64 v[18:19], v[34:35], v[20:21]
	v_mul_f64 v[20:21], v[24:25], v[4:5]
	v_mul_f64 v[4:5], v[22:23], v[4:5]
	v_add_f64 v[14:15], v[14:15], v[36:37]
	v_fma_f64 v[20:21], v[22:23], v[2:3], -v[20:21]
	v_fmac_f64_e32 v[4:5], v[24:25], v[2:3]
	v_add_f64 v[14:15], v[14:15], v[20:21]
	v_add_f64 v[2:3], v[18:19], v[4:5]
	;; [unrolled: 1-line block ×4, first 2 shown]
	v_add_co_u32_e32 v14, vcc, s14, v52
	v_mov_b32_e32 v2, s15
	v_addc_co_u32_e32 v15, vcc, v2, v53, vcc
	global_load_dwordx4 v[2:5], v[14:15], off offset:16
	global_load_dwordx4 v[18:21], v[14:15], off
	global_load_dwordx2 v[54:55], v[50:51], off offset:32
	global_load_dwordx4 v[22:25], v[50:51], off
	v_mov_b32_e32 v14, v47
	v_mad_u64_u32 v[14:15], s[0:1], v17, 48, v[14:15]
	v_mov_b32_e32 v47, v14
	global_load_dwordx4 v[14:17], v[46:47], off offset:32
	global_load_dwordx4 v[30:33], v[46:47], off offset:16
	global_load_dwordx4 v[34:37], v[46:47], off
	global_load_dwordx4 v[42:45], v[10:11], off offset:560
                                        ; kill: killed $vgpr46 killed $vgpr47
	global_load_dwordx4 v[68:71], v[10:11], off offset:544
	global_load_dwordx4 v[72:75], v[10:11], off offset:528
	s_nop 0
	global_load_dwordx4 v[46:49], v[10:11], off offset:512
	s_waitcnt vmcnt(2)
	v_mul_f64 v[64:65], v[30:31], v[70:71]
	s_waitcnt vmcnt(1)
	v_mul_f64 v[62:63], v[34:35], v[74:75]
	v_fmac_f64_e32 v[62:63], v[36:37], v[72:73]
	v_add_f64 v[62:63], v[62:63], 0
	v_fmac_f64_e32 v[64:65], v[32:33], v[68:69]
	v_add_f64 v[62:63], v[62:63], v[64:65]
	v_mul_f64 v[64:65], v[14:15], v[44:45]
	v_fmac_f64_e32 v[64:65], v[16:17], v[42:43]
	v_add_f64 v[62:63], v[62:63], v[64:65]
	v_add_f64 v[62:63], v[40:41], v[62:63]
	v_mul_f64 v[40:41], v[36:37], v[74:75]
	v_fma_f64 v[40:41], v[34:35], v[72:73], -v[40:41]
	v_mul_f64 v[64:65], v[32:33], v[70:71]
	v_add_f64 v[40:41], v[40:41], 0
	v_fma_f64 v[64:65], v[30:31], v[68:69], -v[64:65]
	v_mul_f64 v[44:45], v[16:17], v[44:45]
	v_add_f64 v[40:41], v[40:41], v[64:65]
	v_fma_f64 v[42:43], v[14:15], v[42:43], -v[44:45]
	v_add_f64 v[40:41], v[40:41], v[42:43]
	v_add_f64 v[64:65], v[38:39], v[40:41]
	global_load_dwordx4 v[68:71], v[10:11], off offset:496
	global_load_dwordx4 v[72:75], v[10:11], off offset:480
	;; [unrolled: 1-line block ×4, first 2 shown]
	v_add_f64 v[54:55], v[64:65], v[54:55]
	s_waitcnt vmcnt(3)
	v_mul_f64 v[76:77], v[30:31], v[70:71]
	s_waitcnt vmcnt(2)
	v_mul_f64 v[10:11], v[34:35], v[74:75]
	v_fmac_f64_e32 v[10:11], v[36:37], v[72:73]
	v_add_f64 v[10:11], v[10:11], 0
	v_fmac_f64_e32 v[76:77], v[32:33], v[68:69]
	v_add_f64 v[10:11], v[10:11], v[76:77]
	v_mul_f64 v[76:77], v[14:15], v[48:49]
	v_fmac_f64_e32 v[76:77], v[16:17], v[46:47]
	v_add_f64 v[10:11], v[10:11], v[76:77]
	v_add_f64 v[10:11], v[60:61], v[10:11]
	v_mul_f64 v[60:61], v[36:37], v[74:75]
	v_fma_f64 v[60:61], v[34:35], v[72:73], -v[60:61]
	v_mul_f64 v[70:71], v[32:33], v[70:71]
	v_add_f64 v[60:61], v[60:61], 0
	v_fma_f64 v[68:69], v[30:31], v[68:69], -v[70:71]
	v_mul_f64 v[48:49], v[16:17], v[48:49]
	v_add_f64 v[60:61], v[60:61], v[68:69]
	v_fma_f64 v[46:47], v[14:15], v[46:47], -v[48:49]
	v_add_f64 v[46:47], v[60:61], v[46:47]
	v_mul_f64 v[48:49], v[26:27], v[36:37]
	v_add_f64 v[46:47], v[58:59], v[46:47]
	v_fmac_f64_e32 v[48:49], v[34:35], v[28:29]
	s_waitcnt vmcnt(0)
	v_mul_f64 v[58:59], v[42:43], v[32:33]
	v_mul_f64 v[28:29], v[28:29], v[36:37]
	v_add_f64 v[48:49], v[48:49], 0
	v_fmac_f64_e32 v[58:59], v[30:31], v[44:45]
	v_fma_f64 v[26:27], v[26:27], v[34:35], -v[28:29]
	v_mul_f64 v[28:29], v[44:45], v[32:33]
	v_add_f64 v[48:49], v[48:49], v[58:59]
	v_mul_f64 v[58:59], v[38:39], v[16:17]
	v_add_f64 v[26:27], v[26:27], 0
	v_fma_f64 v[28:29], v[42:43], v[30:31], -v[28:29]
	v_mul_f64 v[16:17], v[40:41], v[16:17]
	v_fmac_f64_e32 v[58:59], v[14:15], v[40:41]
	v_add_f64 v[26:27], v[26:27], v[28:29]
	v_fma_f64 v[14:15], v[38:39], v[14:15], -v[16:17]
	v_add_f64 v[14:15], v[26:27], v[14:15]
	v_add_f64 v[0:1], v[0:1], v[14:15]
	;; [unrolled: 1-line block ×3, first 2 shown]
	v_pk_mov_b32 v[0:1], s[20:21], s[20:21] op_sel:[0,1]
	v_mad_u64_u32 v[30:31], s[0:1], v66, s4, v[0:1]
	v_mad_u64_u32 v[0:1], s[0:1], v18, 48, s[8:9]
	v_add_f64 v[48:49], v[48:49], v[58:59]
	v_add_f64 v[42:43], v[46:47], v[6:7]
	v_mov_b32_e32 v6, v1
	v_add_f64 v[48:49], v[56:57], v[48:49]
	v_mad_u32_u24 v31, v67, s4, v31
	v_mad_u64_u32 v[6:7], s[0:1], v19, 48, v[6:7]
	v_add_f64 v[40:41], v[48:49], v[24:25]
	v_add_f64 v[48:49], v[10:11], v[8:9]
	;; [unrolled: 1-line block ×3, first 2 shown]
	v_mov_b32_e32 v1, v6
	global_load_dwordx4 v[6:9], v[30:31], off offset:48
	global_load_dwordx4 v[10:13], v[30:31], off offset:32
	;; [unrolled: 1-line block ×3, first 2 shown]
	global_load_dwordx4 v[22:25], v[30:31], off
	global_load_dwordx4 v[26:29], v[0:1], off offset:32
	global_load_dwordx4 v[58:61], v[0:1], off offset:16
	global_load_dwordx4 v[62:65], v[0:1], off
	s_waitcnt vmcnt(0)
	v_mul_f64 v[0:1], v[24:25], v[64:65]
	v_fma_f64 v[0:1], v[22:23], v[62:63], -v[0:1]
	v_mul_f64 v[18:19], v[22:23], v[64:65]
	v_mul_f64 v[22:23], v[16:17], v[60:61]
	v_fma_f64 v[22:23], v[14:15], v[58:59], -v[22:23]
	v_mul_f64 v[14:15], v[14:15], v[60:61]
	v_add_f64 v[0:1], v[0:1], 0
	v_fmac_f64_e32 v[14:15], v[58:59], v[16:17]
	v_mul_f64 v[16:17], v[12:13], v[28:29]
	v_fmac_f64_e32 v[18:19], v[62:63], v[24:25]
	v_add_f64 v[0:1], v[0:1], v[22:23]
	v_fma_f64 v[16:17], v[10:11], v[26:27], -v[16:17]
	v_add_f64 v[18:19], v[18:19], 0
	v_add_f64 v[44:45], v[0:1], v[16:17]
	v_mul_f64 v[0:1], v[10:11], v[28:29]
	v_add_f64 v[14:15], v[18:19], v[14:15]
	v_fmac_f64_e32 v[0:1], v[26:27], v[12:13]
	v_add_f64 v[46:47], v[14:15], v[0:1]
	v_mul_f64 v[0:1], v[64:65], v[8:9]
	v_mul_f64 v[8:9], v[62:63], v[8:9]
	v_fmac_f64_e32 v[8:9], v[64:65], v[6:7]
	v_fma_f64 v[0:1], v[62:63], v[6:7], -v[0:1]
	v_add_f64 v[18:19], v[8:9], 0
	global_load_dwordx4 v[6:9], v[30:31], off offset:112
	global_load_dwordx4 v[10:13], v[30:31], off offset:96
	;; [unrolled: 1-line block ×4, first 2 shown]
	v_add_f64 v[0:1], v[0:1], 0
	s_waitcnt vmcnt(0)
	v_mul_f64 v[32:33], v[60:61], v[24:25]
	v_mul_f64 v[24:25], v[58:59], v[24:25]
	v_fma_f64 v[32:33], v[58:59], v[22:23], -v[32:33]
	v_fmac_f64_e32 v[24:25], v[60:61], v[22:23]
	v_mul_f64 v[22:23], v[28:29], v[16:17]
	v_add_f64 v[0:1], v[0:1], v[32:33]
	v_fma_f64 v[22:23], v[26:27], v[14:15], -v[22:23]
	v_add_f64 v[34:35], v[0:1], v[22:23]
	v_mul_f64 v[0:1], v[26:27], v[16:17]
	v_add_f64 v[18:19], v[18:19], v[24:25]
	v_fmac_f64_e32 v[0:1], v[28:29], v[14:15]
	v_add_f64 v[36:37], v[18:19], v[0:1]
	v_mul_f64 v[0:1], v[64:65], v[12:13]
	v_mul_f64 v[12:13], v[62:63], v[12:13]
	v_fmac_f64_e32 v[12:13], v[64:65], v[10:11]
	v_fma_f64 v[0:1], v[62:63], v[10:11], -v[0:1]
	v_add_f64 v[10:11], v[12:13], 0
	v_mul_f64 v[12:13], v[60:61], v[8:9]
	v_mul_f64 v[8:9], v[58:59], v[8:9]
	v_add_f64 v[0:1], v[0:1], 0
	v_fma_f64 v[12:13], v[58:59], v[6:7], -v[12:13]
	v_fmac_f64_e32 v[8:9], v[60:61], v[6:7]
	v_add_f64 v[0:1], v[0:1], v[12:13]
	v_add_f64 v[18:19], v[10:11], v[8:9]
	global_load_dwordx4 v[6:9], v[30:31], off offset:176
	global_load_dwordx4 v[10:13], v[30:31], off offset:160
	;; [unrolled: 1-line block ×4, first 2 shown]
	v_mad_u64_u32 v[58:59], s[0:1], v20, 48, s[8:9]
	s_waitcnt vmcnt(0)
	v_mul_f64 v[32:33], v[28:29], v[24:25]
	v_mul_f64 v[24:25], v[26:27], v[24:25]
	v_fma_f64 v[32:33], v[26:27], v[22:23], -v[32:33]
	v_fmac_f64_e32 v[24:25], v[28:29], v[22:23]
	v_add_f64 v[0:1], v[0:1], v[32:33]
	v_add_f64 v[32:33], v[18:19], v[24:25]
	v_mov_b32_e32 v18, v59
	v_mad_u64_u32 v[18:19], s[0:1], v21, 48, v[18:19]
	v_mov_b32_e32 v59, v18
	global_load_dwordx4 v[18:21], v[58:59], off offset:32
	global_load_dwordx4 v[22:25], v[58:59], off offset:16
	global_load_dwordx4 v[26:29], v[58:59], off
	s_waitcnt vmcnt(0)
	v_mul_f64 v[58:59], v[16:17], v[28:29]
	v_fma_f64 v[58:59], v[14:15], v[26:27], -v[58:59]
	v_mul_f64 v[14:15], v[14:15], v[28:29]
	v_fmac_f64_e32 v[14:15], v[26:27], v[16:17]
	v_mul_f64 v[16:17], v[12:13], v[24:25]
	v_fma_f64 v[16:17], v[10:11], v[22:23], -v[16:17]
	v_mul_f64 v[10:11], v[10:11], v[24:25]
	v_fmac_f64_e32 v[10:11], v[22:23], v[12:13]
	v_mul_f64 v[12:13], v[8:9], v[20:21]
	v_add_f64 v[58:59], v[58:59], 0
	v_add_f64 v[14:15], v[14:15], 0
	v_fma_f64 v[12:13], v[6:7], v[18:19], -v[12:13]
	v_mul_f64 v[6:7], v[6:7], v[20:21]
	v_add_f64 v[16:17], v[58:59], v[16:17]
	v_add_f64 v[10:11], v[14:15], v[10:11]
	v_fmac_f64_e32 v[6:7], v[18:19], v[8:9]
	v_add_f64 v[12:13], v[16:17], v[12:13]
	v_add_f64 v[6:7], v[10:11], v[6:7]
	;; [unrolled: 1-line block ×4, first 2 shown]
	global_load_dwordx4 v[6:9], v[30:31], off offset:240
	global_load_dwordx4 v[10:13], v[30:31], off offset:224
	;; [unrolled: 1-line block ×4, first 2 shown]
	s_waitcnt vmcnt(0)
	v_mul_f64 v[62:63], v[28:29], v[60:61]
	v_mul_f64 v[60:61], v[26:27], v[60:61]
	v_fmac_f64_e32 v[60:61], v[28:29], v[58:59]
	v_fma_f64 v[62:63], v[26:27], v[58:59], -v[62:63]
	v_add_f64 v[58:59], v[60:61], 0
	v_mul_f64 v[60:61], v[24:25], v[16:17]
	v_mul_f64 v[16:17], v[22:23], v[16:17]
	v_fmac_f64_e32 v[16:17], v[24:25], v[14:15]
	v_fma_f64 v[60:61], v[22:23], v[14:15], -v[60:61]
	v_add_f64 v[14:15], v[58:59], v[16:17]
	v_mul_f64 v[16:17], v[20:21], v[12:13]
	v_mul_f64 v[12:13], v[18:19], v[12:13]
	v_fmac_f64_e32 v[12:13], v[20:21], v[10:11]
	v_add_f64 v[62:63], v[62:63], 0
	v_fma_f64 v[16:17], v[18:19], v[10:11], -v[16:17]
	v_add_f64 v[10:11], v[14:15], v[12:13]
	v_add_f64 v[60:61], v[62:63], v[60:61]
	;; [unrolled: 1-line block ×3, first 2 shown]
	v_mul_f64 v[10:11], v[28:29], v[8:9]
	v_mul_f64 v[8:9], v[26:27], v[8:9]
	v_add_f64 v[16:17], v[60:61], v[16:17]
	v_fma_f64 v[10:11], v[26:27], v[6:7], -v[10:11]
	v_fmac_f64_e32 v[8:9], v[28:29], v[6:7]
	v_add_f64 v[34:35], v[34:35], v[16:17]
	v_add_f64 v[58:59], v[10:11], 0
	v_add_f64 v[60:61], v[8:9], 0
	global_load_dwordx4 v[6:9], v[30:31], off offset:304
	global_load_dwordx4 v[10:13], v[30:31], off offset:288
	;; [unrolled: 1-line block ×4, first 2 shown]
	s_waitcnt vmcnt(0)
	v_mul_f64 v[62:63], v[24:25], v[28:29]
	v_fma_f64 v[62:63], v[22:23], v[26:27], -v[62:63]
	v_mul_f64 v[22:23], v[22:23], v[28:29]
	v_fmac_f64_e32 v[22:23], v[24:25], v[26:27]
	v_mul_f64 v[24:25], v[20:21], v[16:17]
	v_mul_f64 v[16:17], v[18:19], v[16:17]
	v_add_f64 v[58:59], v[58:59], v[62:63]
	v_add_f64 v[22:23], v[60:61], v[22:23]
	v_fma_f64 v[24:25], v[18:19], v[14:15], -v[24:25]
	v_fmac_f64_e32 v[16:17], v[20:21], v[14:15]
	v_add_f64 v[24:25], v[58:59], v[24:25]
	v_add_f64 v[14:15], v[22:23], v[16:17]
	v_mad_u64_u32 v[22:23], s[0:1], v2, 48, s[8:9]
	v_add_f64 v[62:63], v[0:1], v[24:25]
	v_mov_b32_e32 v0, v23
	v_mad_u64_u32 v[0:1], s[0:1], v3, 48, v[0:1]
	v_mov_b32_e32 v23, v0
	v_add_f64 v[32:33], v[32:33], v[14:15]
	global_load_dwordx4 v[0:3], v[22:23], off offset:32
	global_load_dwordx4 v[14:17], v[22:23], off offset:16
	global_load_dwordx4 v[18:21], v[22:23], off
	s_waitcnt vmcnt(0)
	v_mul_f64 v[22:23], v[12:13], v[20:21]
	v_fma_f64 v[22:23], v[10:11], v[18:19], -v[22:23]
	v_mul_f64 v[10:11], v[10:11], v[20:21]
	v_fmac_f64_e32 v[10:11], v[18:19], v[12:13]
	v_mul_f64 v[12:13], v[8:9], v[16:17]
	v_fma_f64 v[12:13], v[6:7], v[14:15], -v[12:13]
	v_mul_f64 v[6:7], v[6:7], v[16:17]
	v_add_f64 v[22:23], v[22:23], 0
	v_add_f64 v[10:11], v[10:11], 0
	v_fmac_f64_e32 v[6:7], v[14:15], v[8:9]
	v_add_f64 v[58:59], v[22:23], v[12:13]
	v_add_f64 v[60:61], v[10:11], v[6:7]
	global_load_dwordx4 v[6:9], v[30:31], off offset:368
	global_load_dwordx4 v[10:13], v[30:31], off offset:352
	;; [unrolled: 1-line block ×4, first 2 shown]
	s_waitcnt vmcnt(0)
	v_mul_f64 v[64:65], v[28:29], v[2:3]
	v_fma_f64 v[64:65], v[26:27], v[0:1], -v[64:65]
	v_mul_f64 v[26:27], v[26:27], v[2:3]
	v_fmac_f64_e32 v[26:27], v[0:1], v[28:29]
	v_add_f64 v[26:27], v[60:61], v[26:27]
	v_add_f64 v[46:47], v[46:47], v[26:27]
	v_mul_f64 v[26:27], v[20:21], v[24:25]
	v_mul_f64 v[24:25], v[18:19], v[24:25]
	v_fmac_f64_e32 v[24:25], v[20:21], v[22:23]
	v_fma_f64 v[26:27], v[18:19], v[22:23], -v[26:27]
	v_add_f64 v[22:23], v[24:25], 0
	v_mul_f64 v[24:25], v[16:17], v[12:13]
	v_mul_f64 v[12:13], v[14:15], v[12:13]
	v_fmac_f64_e32 v[12:13], v[16:17], v[10:11]
	v_add_f64 v[26:27], v[26:27], 0
	v_fma_f64 v[24:25], v[14:15], v[10:11], -v[24:25]
	v_add_f64 v[10:11], v[22:23], v[12:13]
	v_mul_f64 v[12:13], v[2:3], v[8:9]
	v_mul_f64 v[8:9], v[0:1], v[8:9]
	v_add_f64 v[24:25], v[26:27], v[24:25]
	v_fma_f64 v[12:13], v[0:1], v[6:7], -v[12:13]
	v_fmac_f64_e32 v[8:9], v[2:3], v[6:7]
	v_add_f64 v[58:59], v[58:59], v[64:65]
	v_add_f64 v[12:13], v[24:25], v[12:13]
	;; [unrolled: 1-line block ×6, first 2 shown]
	global_load_dwordx4 v[10:13], v[30:31], off offset:432
	global_load_dwordx4 v[6:9], v[30:31], off offset:416
	;; [unrolled: 1-line block ×4, first 2 shown]
	s_waitcnt vmcnt(0)
	v_mul_f64 v[34:35], v[20:21], v[28:29]
	v_fma_f64 v[34:35], v[18:19], v[26:27], -v[34:35]
	v_mul_f64 v[18:19], v[18:19], v[28:29]
	v_fmac_f64_e32 v[18:19], v[20:21], v[26:27]
	v_mul_f64 v[20:21], v[16:17], v[24:25]
	v_fma_f64 v[20:21], v[14:15], v[22:23], -v[20:21]
	v_mul_f64 v[14:15], v[14:15], v[24:25]
	v_fmac_f64_e32 v[14:15], v[16:17], v[22:23]
	v_mul_f64 v[16:17], v[2:3], v[8:9]
	v_add_f64 v[18:19], v[18:19], 0
	v_fma_f64 v[16:17], v[0:1], v[6:7], -v[16:17]
	v_mul_f64 v[0:1], v[0:1], v[8:9]
	v_add_f64 v[14:15], v[18:19], v[14:15]
	v_fmac_f64_e32 v[0:1], v[2:3], v[6:7]
	v_add_f64 v[0:1], v[14:15], v[0:1]
	v_add_f64 v[28:29], v[32:33], v[0:1]
	v_mad_u64_u32 v[32:33], s[0:1], v4, 48, s[8:9]
	v_add_f64 v[34:35], v[34:35], 0
	v_mov_b32_e32 v4, v33
	v_add_f64 v[20:21], v[34:35], v[20:21]
	v_add_co_u32_e32 v6, vcc, s2, v52
	v_mov_b32_e32 v0, s3
	v_mad_u64_u32 v[4:5], s[0:1], v5, 48, v[4:5]
	v_add_f64 v[16:17], v[20:21], v[16:17]
	v_addc_co_u32_e32 v7, vcc, v0, v53, vcc
	v_mov_b32_e32 v33, v4
	v_add_f64 v[26:27], v[62:63], v[16:17]
	global_load_dwordx4 v[0:3], v[6:7], off offset:16
	s_nop 0
	global_load_dwordx4 v[6:9], v[6:7], off
	s_nop 0
	global_load_dwordx4 v[14:17], v[32:33], off offset:32
	global_load_dwordx4 v[18:21], v[32:33], off offset:16
	global_load_dwordx4 v[22:25], v[32:33], off
	global_load_dwordx4 v[62:65], v[30:31], off offset:560
	global_load_dwordx4 v[68:71], v[30:31], off offset:544
                                        ; kill: killed $vgpr32 killed $vgpr33
	global_load_dwordx4 v[72:75], v[30:31], off offset:528
	global_load_dwordx4 v[34:37], v[30:31], off offset:512
	s_waitcnt vmcnt(2)
	v_mul_f64 v[32:33], v[18:19], v[70:71]
	v_fmac_f64_e32 v[32:33], v[20:21], v[68:69]
	s_waitcnt vmcnt(1)
	v_mul_f64 v[4:5], v[22:23], v[74:75]
	v_fmac_f64_e32 v[4:5], v[24:25], v[72:73]
	v_add_f64 v[4:5], v[4:5], 0
	v_add_f64 v[4:5], v[4:5], v[32:33]
	v_mul_f64 v[32:33], v[14:15], v[64:65]
	v_fmac_f64_e32 v[32:33], v[16:17], v[62:63]
	v_add_f64 v[4:5], v[4:5], v[32:33]
	v_add_f64 v[4:5], v[28:29], v[4:5]
	v_mul_f64 v[28:29], v[24:25], v[74:75]
	v_fma_f64 v[28:29], v[22:23], v[72:73], -v[28:29]
	v_mul_f64 v[32:33], v[20:21], v[70:71]
	v_add_f64 v[28:29], v[28:29], 0
	v_fma_f64 v[32:33], v[18:19], v[68:69], -v[32:33]
	v_add_f64 v[28:29], v[28:29], v[32:33]
	v_mul_f64 v[32:33], v[16:17], v[64:65]
	v_fma_f64 v[32:33], v[14:15], v[62:63], -v[32:33]
	v_add_f64 v[28:29], v[28:29], v[32:33]
	v_add_f64 v[52:53], v[26:27], v[28:29]
	global_load_dwordx4 v[62:65], v[30:31], off offset:496
	global_load_dwordx4 v[68:71], v[30:31], off offset:480
	;; [unrolled: 1-line block ×3, first 2 shown]
	s_nop 0
	global_load_dwordx4 v[30:33], v[30:31], off offset:448
	s_waitcnt vmcnt(3)
	v_mul_f64 v[74:75], v[18:19], v[64:65]
	s_waitcnt vmcnt(2)
	v_mul_f64 v[72:73], v[22:23], v[70:71]
	v_fmac_f64_e32 v[72:73], v[24:25], v[68:69]
	v_mul_f64 v[70:71], v[24:25], v[70:71]
	v_add_f64 v[72:73], v[72:73], 0
	v_fmac_f64_e32 v[74:75], v[20:21], v[62:63]
	v_fma_f64 v[68:69], v[22:23], v[68:69], -v[70:71]
	v_mul_f64 v[64:65], v[20:21], v[64:65]
	v_add_f64 v[72:73], v[72:73], v[74:75]
	v_mul_f64 v[74:75], v[14:15], v[36:37]
	v_add_f64 v[68:69], v[68:69], 0
	v_fma_f64 v[62:63], v[18:19], v[62:63], -v[64:65]
	v_mul_f64 v[36:37], v[16:17], v[36:37]
	v_fmac_f64_e32 v[74:75], v[16:17], v[34:35]
	v_add_f64 v[62:63], v[68:69], v[62:63]
	v_fma_f64 v[34:35], v[14:15], v[34:35], -v[36:37]
	v_add_f64 v[34:35], v[62:63], v[34:35]
	v_mul_f64 v[36:37], v[10:11], v[24:25]
	v_add_f64 v[34:35], v[58:59], v[34:35]
	v_fmac_f64_e32 v[36:37], v[22:23], v[12:13]
	s_waitcnt vmcnt(0)
	v_mul_f64 v[58:59], v[30:31], v[20:21]
	v_mul_f64 v[12:13], v[12:13], v[24:25]
	v_add_f64 v[36:37], v[36:37], 0
	v_fmac_f64_e32 v[58:59], v[18:19], v[32:33]
	v_fma_f64 v[10:11], v[10:11], v[22:23], -v[12:13]
	v_mul_f64 v[12:13], v[32:33], v[20:21]
	v_add_f64 v[36:37], v[36:37], v[58:59]
	v_mul_f64 v[58:59], v[26:27], v[16:17]
	v_add_f64 v[10:11], v[10:11], 0
	v_fma_f64 v[12:13], v[30:31], v[18:19], -v[12:13]
	v_fmac_f64_e32 v[58:59], v[14:15], v[28:29]
	v_add_f64 v[10:11], v[10:11], v[12:13]
	v_mul_f64 v[12:13], v[28:29], v[16:17]
	v_add_f64 v[36:37], v[36:37], v[58:59]
	v_fma_f64 v[12:13], v[26:27], v[14:15], -v[12:13]
	v_add_f64 v[72:73], v[72:73], v[74:75]
	v_add_f64 v[36:37], v[46:47], v[36:37]
	;; [unrolled: 1-line block ×5, first 2 shown]
	v_add_f64 v[44:45], v[40:41], -v[36:37]
	v_add_f64 v[42:43], v[42:43], -v[34:35]
	;; [unrolled: 1-line block ×3, first 2 shown]
	v_pk_mov_b32 v[4:5], s[22:23], s[22:23] op_sel:[0,1]
	v_mad_u64_u32 v[34:35], s[0:1], v6, 48, s[8:9]
	v_add_f64 v[40:41], v[48:49], -v[60:61]
	v_mad_u64_u32 v[48:49], s[0:1], v66, s4, v[4:5]
	v_mov_b32_e32 v4, v35
	v_mad_u32_u24 v49, v67, s4, v49
	v_mad_u64_u32 v[4:5], s[0:1], v7, 48, v[4:5]
	v_add_f64 v[46:47], v[38:39], -v[10:11]
	v_mov_b32_e32 v35, v4
	global_load_dwordx4 v[4:7], v[48:49], off offset:48
	global_load_dwordx4 v[10:13], v[48:49], off offset:32
	;; [unrolled: 1-line block ×3, first 2 shown]
	global_load_dwordx4 v[18:21], v[48:49], off
	global_load_dwordx4 v[22:25], v[34:35], off offset:32
	global_load_dwordx4 v[26:29], v[34:35], off offset:16
	global_load_dwordx4 v[30:33], v[34:35], off
	v_add_f64 v[38:39], v[54:55], -v[52:53]
	s_waitcnt vmcnt(0)
	v_mul_f64 v[34:35], v[20:21], v[32:33]
	v_fma_f64 v[34:35], v[18:19], v[30:31], -v[34:35]
	v_mul_f64 v[18:19], v[18:19], v[32:33]
	v_fmac_f64_e32 v[18:19], v[30:31], v[20:21]
	v_mul_f64 v[20:21], v[16:17], v[28:29]
	v_fma_f64 v[20:21], v[14:15], v[26:27], -v[20:21]
	v_mul_f64 v[14:15], v[14:15], v[28:29]
	v_fmac_f64_e32 v[14:15], v[26:27], v[16:17]
	v_mul_f64 v[16:17], v[12:13], v[24:25]
	v_add_f64 v[18:19], v[18:19], 0
	v_fma_f64 v[16:17], v[10:11], v[22:23], -v[16:17]
	v_mul_f64 v[10:11], v[10:11], v[24:25]
	v_add_f64 v[14:15], v[18:19], v[14:15]
	v_fmac_f64_e32 v[10:11], v[22:23], v[12:13]
	v_add_f64 v[34:35], v[34:35], 0
	v_add_f64 v[56:57], v[14:15], v[10:11]
	v_mul_f64 v[10:11], v[32:33], v[6:7]
	v_mul_f64 v[6:7], v[30:31], v[6:7]
	v_add_f64 v[20:21], v[34:35], v[20:21]
	v_fma_f64 v[10:11], v[30:31], v[4:5], -v[10:11]
	v_fmac_f64_e32 v[6:7], v[32:33], v[4:5]
	v_add_f64 v[54:55], v[20:21], v[16:17]
	v_add_f64 v[34:35], v[10:11], 0
	;; [unrolled: 1-line block ×3, first 2 shown]
	global_load_dwordx4 v[4:7], v[48:49], off offset:112
	global_load_dwordx4 v[10:13], v[48:49], off offset:96
	;; [unrolled: 1-line block ×4, first 2 shown]
	s_waitcnt vmcnt(0)
	v_mul_f64 v[58:59], v[28:29], v[20:21]
	v_mul_f64 v[20:21], v[26:27], v[20:21]
	v_fmac_f64_e32 v[20:21], v[28:29], v[18:19]
	v_fma_f64 v[58:59], v[26:27], v[18:19], -v[58:59]
	v_add_f64 v[18:19], v[52:53], v[20:21]
	v_mul_f64 v[20:21], v[24:25], v[16:17]
	v_mul_f64 v[16:17], v[22:23], v[16:17]
	v_fma_f64 v[20:21], v[22:23], v[14:15], -v[20:21]
	v_fmac_f64_e32 v[16:17], v[24:25], v[14:15]
	v_mul_f64 v[14:15], v[32:33], v[12:13]
	v_mul_f64 v[12:13], v[30:31], v[12:13]
	v_fmac_f64_e32 v[12:13], v[32:33], v[10:11]
	v_fma_f64 v[14:15], v[30:31], v[10:11], -v[14:15]
	v_add_f64 v[10:11], v[12:13], 0
	v_mul_f64 v[12:13], v[28:29], v[6:7]
	v_mul_f64 v[6:7], v[26:27], v[6:7]
	v_add_f64 v[34:35], v[34:35], v[58:59]
	v_add_f64 v[14:15], v[14:15], 0
	v_fma_f64 v[12:13], v[26:27], v[4:5], -v[12:13]
	v_fmac_f64_e32 v[6:7], v[28:29], v[4:5]
	v_add_f64 v[34:35], v[34:35], v[20:21]
	v_add_f64 v[52:53], v[18:19], v[16:17]
	;; [unrolled: 1-line block ×4, first 2 shown]
	global_load_dwordx4 v[4:7], v[48:49], off offset:176
	global_load_dwordx4 v[10:13], v[48:49], off offset:160
	;; [unrolled: 1-line block ×4, first 2 shown]
	v_mad_u64_u32 v[58:59], s[0:1], v8, 48, s[8:9]
	v_mov_b32_e32 v8, v59
	v_mad_u64_u32 v[8:9], s[0:1], v9, 48, v[8:9]
	v_mov_b32_e32 v59, v8
	s_waitcnt vmcnt(0)
	v_mul_f64 v[28:29], v[24:25], v[20:21]
	v_mul_f64 v[20:21], v[22:23], v[20:21]
	v_fma_f64 v[28:29], v[22:23], v[18:19], -v[28:29]
	v_fmac_f64_e32 v[20:21], v[24:25], v[18:19]
	v_add_f64 v[30:31], v[30:31], v[28:29]
	v_add_f64 v[32:33], v[26:27], v[20:21]
	global_load_dwordx4 v[18:21], v[58:59], off offset:32
	global_load_dwordx4 v[22:25], v[58:59], off offset:16
	global_load_dwordx4 v[26:29], v[58:59], off
	s_waitcnt vmcnt(0)
	v_mul_f64 v[8:9], v[16:17], v[28:29]
	v_fma_f64 v[8:9], v[14:15], v[26:27], -v[8:9]
	v_mul_f64 v[14:15], v[14:15], v[28:29]
	v_fmac_f64_e32 v[14:15], v[26:27], v[16:17]
	v_mul_f64 v[16:17], v[12:13], v[24:25]
	v_fma_f64 v[16:17], v[10:11], v[22:23], -v[16:17]
	v_mul_f64 v[10:11], v[10:11], v[24:25]
	v_fmac_f64_e32 v[10:11], v[22:23], v[12:13]
	v_mul_f64 v[12:13], v[6:7], v[20:21]
	v_add_f64 v[8:9], v[8:9], 0
	v_add_f64 v[14:15], v[14:15], 0
	v_fma_f64 v[12:13], v[4:5], v[18:19], -v[12:13]
	v_mul_f64 v[4:5], v[4:5], v[20:21]
	v_add_f64 v[8:9], v[8:9], v[16:17]
	v_add_f64 v[10:11], v[14:15], v[10:11]
	v_fmac_f64_e32 v[4:5], v[18:19], v[6:7]
	v_add_f64 v[8:9], v[8:9], v[12:13]
	v_add_f64 v[4:5], v[10:11], v[4:5]
	;; [unrolled: 1-line block ×4, first 2 shown]
	global_load_dwordx4 v[4:7], v[48:49], off offset:240
	global_load_dwordx4 v[8:11], v[48:49], off offset:224
	;; [unrolled: 1-line block ×4, first 2 shown]
	s_waitcnt vmcnt(0)
	v_mul_f64 v[16:17], v[28:29], v[60:61]
	v_mul_f64 v[60:61], v[26:27], v[60:61]
	v_fmac_f64_e32 v[60:61], v[28:29], v[58:59]
	v_fma_f64 v[16:17], v[26:27], v[58:59], -v[16:17]
	v_add_f64 v[58:59], v[60:61], 0
	v_mul_f64 v[60:61], v[24:25], v[56:57]
	v_mul_f64 v[56:57], v[22:23], v[56:57]
	v_fmac_f64_e32 v[56:57], v[24:25], v[54:55]
	v_add_f64 v[16:17], v[16:17], 0
	v_fma_f64 v[60:61], v[22:23], v[54:55], -v[60:61]
	v_add_f64 v[54:55], v[58:59], v[56:57]
	v_mul_f64 v[56:57], v[20:21], v[10:11]
	v_mul_f64 v[10:11], v[18:19], v[10:11]
	v_add_f64 v[16:17], v[16:17], v[60:61]
	v_fma_f64 v[56:57], v[18:19], v[8:9], -v[56:57]
	v_fmac_f64_e32 v[10:11], v[20:21], v[8:9]
	v_add_f64 v[16:17], v[16:17], v[56:57]
	v_add_f64 v[8:9], v[54:55], v[10:11]
	;; [unrolled: 1-line block ×4, first 2 shown]
	v_mul_f64 v[8:9], v[28:29], v[6:7]
	v_mul_f64 v[6:7], v[26:27], v[6:7]
	v_fma_f64 v[8:9], v[26:27], v[4:5], -v[8:9]
	v_fmac_f64_e32 v[6:7], v[28:29], v[4:5]
	v_add_f64 v[56:57], v[8:9], 0
	v_add_f64 v[58:59], v[6:7], 0
	global_load_dwordx4 v[4:7], v[48:49], off offset:304
	global_load_dwordx4 v[8:11], v[48:49], off offset:288
	;; [unrolled: 1-line block ×4, first 2 shown]
	s_waitcnt vmcnt(0)
	v_mul_f64 v[60:61], v[24:25], v[54:55]
	v_fma_f64 v[60:61], v[22:23], v[52:53], -v[60:61]
	v_mul_f64 v[22:23], v[22:23], v[54:55]
	v_fmac_f64_e32 v[22:23], v[24:25], v[52:53]
	v_mul_f64 v[24:25], v[20:21], v[28:29]
	v_add_f64 v[56:57], v[56:57], v[60:61]
	v_fma_f64 v[24:25], v[18:19], v[26:27], -v[24:25]
	v_add_f64 v[24:25], v[56:57], v[24:25]
	v_add_f64 v[60:61], v[30:31], v[24:25]
	v_mad_u64_u32 v[30:31], s[0:1], v0, 48, s[8:9]
	v_mul_f64 v[18:19], v[18:19], v[28:29]
	v_mov_b32_e32 v0, v31
	v_add_f64 v[22:23], v[58:59], v[22:23]
	v_fmac_f64_e32 v[18:19], v[20:21], v[26:27]
	v_mad_u64_u32 v[0:1], s[0:1], v1, 48, v[0:1]
	v_add_f64 v[18:19], v[22:23], v[18:19]
	v_mov_b32_e32 v31, v0
	v_add_f64 v[62:63], v[32:33], v[18:19]
	global_load_dwordx4 v[18:21], v[30:31], off offset:32
	global_load_dwordx4 v[22:25], v[30:31], off offset:16
	global_load_dwordx4 v[26:29], v[30:31], off
	s_waitcnt vmcnt(0)
	v_mul_f64 v[0:1], v[10:11], v[28:29]
	v_fma_f64 v[0:1], v[8:9], v[26:27], -v[0:1]
	v_mul_f64 v[8:9], v[8:9], v[28:29]
	v_fmac_f64_e32 v[8:9], v[26:27], v[10:11]
	v_mul_f64 v[10:11], v[6:7], v[24:25]
	v_fma_f64 v[10:11], v[4:5], v[22:23], -v[10:11]
	v_mul_f64 v[4:5], v[4:5], v[24:25]
	v_add_f64 v[0:1], v[0:1], 0
	v_add_f64 v[8:9], v[8:9], 0
	v_fmac_f64_e32 v[4:5], v[22:23], v[6:7]
	v_add_f64 v[0:1], v[0:1], v[10:11]
	v_add_f64 v[56:57], v[8:9], v[4:5]
	global_load_dwordx4 v[4:7], v[48:49], off offset:368
	global_load_dwordx4 v[8:11], v[48:49], off offset:352
	;; [unrolled: 1-line block ×4, first 2 shown]
	s_waitcnt vmcnt(0)
	v_mul_f64 v[58:59], v[54:55], v[20:21]
	v_fma_f64 v[58:59], v[52:53], v[18:19], -v[58:59]
	v_mul_f64 v[52:53], v[52:53], v[20:21]
	v_add_f64 v[0:1], v[0:1], v[58:59]
	v_fmac_f64_e32 v[52:53], v[18:19], v[54:55]
	v_add_f64 v[54:55], v[56:57], v[52:53]
	v_add_f64 v[52:53], v[12:13], v[0:1]
	v_mul_f64 v[12:13], v[26:27], v[32:33]
	v_add_f64 v[54:55], v[14:15], v[54:55]
	v_fmac_f64_e32 v[12:13], v[28:29], v[30:31]
	v_mul_f64 v[14:15], v[24:25], v[10:11]
	v_mul_f64 v[10:11], v[22:23], v[10:11]
	;; [unrolled: 1-line block ×3, first 2 shown]
	v_add_f64 v[12:13], v[12:13], 0
	v_fmac_f64_e32 v[10:11], v[24:25], v[8:9]
	v_fma_f64 v[0:1], v[26:27], v[30:31], -v[0:1]
	v_fma_f64 v[14:15], v[22:23], v[8:9], -v[14:15]
	v_add_f64 v[8:9], v[12:13], v[10:11]
	v_mul_f64 v[10:11], v[20:21], v[6:7]
	v_mul_f64 v[6:7], v[18:19], v[6:7]
	v_add_f64 v[0:1], v[0:1], 0
	v_fmac_f64_e32 v[6:7], v[20:21], v[4:5]
	v_add_f64 v[0:1], v[0:1], v[14:15]
	v_fma_f64 v[10:11], v[18:19], v[4:5], -v[10:11]
	v_add_f64 v[4:5], v[8:9], v[6:7]
	v_add_f64 v[0:1], v[0:1], v[10:11]
	;; [unrolled: 1-line block ×3, first 2 shown]
	global_load_dwordx4 v[4:7], v[48:49], off offset:432
	global_load_dwordx4 v[8:11], v[48:49], off offset:416
	global_load_dwordx4 v[12:15], v[48:49], off offset:400
	global_load_dwordx4 v[30:33], v[48:49], off offset:384
	v_add_f64 v[56:57], v[16:17], v[0:1]
	s_waitcnt vmcnt(0)
	v_mul_f64 v[0:1], v[28:29], v[32:33]
	v_mul_f64 v[16:17], v[26:27], v[32:33]
	v_fma_f64 v[0:1], v[26:27], v[30:31], -v[0:1]
	v_fmac_f64_e32 v[16:17], v[28:29], v[30:31]
	v_mul_f64 v[26:27], v[24:25], v[14:15]
	v_mul_f64 v[14:15], v[22:23], v[14:15]
	v_add_f64 v[16:17], v[16:17], 0
	v_fmac_f64_e32 v[14:15], v[24:25], v[12:13]
	v_add_f64 v[0:1], v[0:1], 0
	v_fma_f64 v[26:27], v[22:23], v[12:13], -v[26:27]
	v_add_f64 v[12:13], v[16:17], v[14:15]
	v_mul_f64 v[14:15], v[20:21], v[10:11]
	v_add_f64 v[0:1], v[0:1], v[26:27]
	v_fma_f64 v[14:15], v[18:19], v[8:9], -v[14:15]
	v_add_f64 v[0:1], v[0:1], v[14:15]
	v_mul_f64 v[10:11], v[18:19], v[10:11]
	v_mad_u64_u32 v[24:25], s[0:1], v2, 48, s[8:9]
	v_fmac_f64_e32 v[10:11], v[20:21], v[8:9]
	v_add_f64 v[20:21], v[60:61], v[0:1]
	v_mov_b32_e32 v0, v25
	v_mad_u64_u32 v[0:1], s[0:1], v3, 48, v[0:1]
	v_add_f64 v[8:9], v[12:13], v[10:11]
	v_mov_b32_e32 v25, v0
	v_add_f64 v[22:23], v[62:63], v[8:9]
	global_load_dwordx4 v[0:3], v[24:25], off offset:32
	global_load_dwordx4 v[8:11], v[24:25], off offset:16
	global_load_dwordx4 v[12:15], v[24:25], off
	global_load_dwordx4 v[26:29], v[48:49], off offset:560
	global_load_dwordx4 v[30:33], v[48:49], off offset:544
	;; [unrolled: 1-line block ×4, first 2 shown]
	s_waitcnt vmcnt(2)
	v_mul_f64 v[34:35], v[8:9], v[32:33]
	s_waitcnt vmcnt(1)
	v_mul_f64 v[24:25], v[12:13], v[64:65]
	v_fmac_f64_e32 v[24:25], v[14:15], v[62:63]
	v_add_f64 v[24:25], v[24:25], 0
	v_fmac_f64_e32 v[34:35], v[10:11], v[30:31]
	v_add_f64 v[24:25], v[24:25], v[34:35]
	v_mul_f64 v[34:35], v[0:1], v[28:29]
	v_fmac_f64_e32 v[34:35], v[2:3], v[26:27]
	v_add_f64 v[24:25], v[24:25], v[34:35]
	v_add_f64 v[60:61], v[22:23], v[24:25]
	v_mul_f64 v[22:23], v[14:15], v[64:65]
	v_fma_f64 v[22:23], v[12:13], v[62:63], -v[22:23]
	v_mul_f64 v[24:25], v[10:11], v[32:33]
	v_add_f64 v[22:23], v[22:23], 0
	v_fma_f64 v[24:25], v[8:9], v[30:31], -v[24:25]
	v_add_f64 v[22:23], v[22:23], v[24:25]
	v_mul_f64 v[24:25], v[2:3], v[28:29]
	v_fma_f64 v[24:25], v[0:1], v[26:27], -v[24:25]
	v_add_f64 v[22:23], v[22:23], v[24:25]
	v_add_f64 v[62:63], v[20:21], v[22:23]
	global_load_dwordx4 v[20:23], v[48:49], off offset:496
	global_load_dwordx4 v[32:35], v[48:49], off offset:480
	;; [unrolled: 1-line block ×4, first 2 shown]
	s_waitcnt vmcnt(3)
	v_mul_f64 v[64:65], v[8:9], v[22:23]
	s_waitcnt vmcnt(2)
	v_mul_f64 v[48:49], v[12:13], v[34:35]
	v_fmac_f64_e32 v[48:49], v[14:15], v[32:33]
	v_mul_f64 v[34:35], v[14:15], v[34:35]
	v_add_f64 v[48:49], v[48:49], 0
	v_fmac_f64_e32 v[64:65], v[10:11], v[20:21]
	v_fma_f64 v[32:33], v[12:13], v[32:33], -v[34:35]
	v_mul_f64 v[22:23], v[10:11], v[22:23]
	v_add_f64 v[48:49], v[48:49], v[64:65]
	v_mul_f64 v[64:65], v[0:1], v[18:19]
	v_add_f64 v[32:33], v[32:33], 0
	v_fma_f64 v[20:21], v[8:9], v[20:21], -v[22:23]
	v_mul_f64 v[18:19], v[2:3], v[18:19]
	v_fmac_f64_e32 v[64:65], v[2:3], v[16:17]
	v_add_f64 v[20:21], v[32:33], v[20:21]
	v_fma_f64 v[16:17], v[0:1], v[16:17], -v[18:19]
	v_mul_f64 v[18:19], v[4:5], v[14:15]
	v_add_f64 v[16:17], v[20:21], v[16:17]
	v_fmac_f64_e32 v[18:19], v[12:13], v[6:7]
	s_waitcnt vmcnt(0)
	v_mul_f64 v[20:21], v[28:29], v[10:11]
	v_mul_f64 v[6:7], v[6:7], v[14:15]
	v_add_f64 v[18:19], v[18:19], 0
	v_fmac_f64_e32 v[20:21], v[8:9], v[30:31]
	v_fma_f64 v[4:5], v[4:5], v[12:13], -v[6:7]
	v_mul_f64 v[6:7], v[30:31], v[10:11]
	v_add_f64 v[18:19], v[18:19], v[20:21]
	v_mul_f64 v[20:21], v[24:25], v[2:3]
	v_add_f64 v[4:5], v[4:5], 0
	v_fma_f64 v[6:7], v[28:29], v[8:9], -v[6:7]
	v_mul_f64 v[2:3], v[26:27], v[2:3]
	v_fmac_f64_e32 v[20:21], v[0:1], v[26:27]
	v_add_f64 v[4:5], v[4:5], v[6:7]
	v_fma_f64 v[0:1], v[24:25], v[0:1], -v[2:3]
	v_add_f64 v[18:19], v[18:19], v[20:21]
	v_add_f64 v[0:1], v[4:5], v[0:1]
	;; [unrolled: 1-line block ×7, first 2 shown]
	v_add_f64 v[0:1], v[46:47], -v[0:1]
	v_add_f64 v[2:3], v[44:45], -v[18:19]
	global_store_dwordx4 v[50:51], v[0:3], off
	s_nop 0
	v_add_f64 v[0:1], v[42:43], -v[16:17]
	v_add_f64 v[2:3], v[40:41], -v[48:49]
	global_store_dwordx4 v[50:51], v[0:3], off offset:16
	s_nop 0
	v_add_f64 v[0:1], v[38:39], -v[62:63]
	v_add_f64 v[2:3], v[36:37], -v[60:61]
	global_store_dwordx4 v[50:51], v[0:3], off offset:32
.LBB1_2:
	s_endpgm
	.section	.rodata,"a",@progbits
	.p2align	6, 0x0
	.amdhsa_kernel _Z6dslashPK11dsu3_matrixS1_S1_S1_PK11dsu3_vectorPS2_PKmS7_S7_S7_i
		.amdhsa_group_segment_fixed_size 0
		.amdhsa_private_segment_fixed_size 0
		.amdhsa_kernarg_size 344
		.amdhsa_user_sgpr_count 6
		.amdhsa_user_sgpr_private_segment_buffer 1
		.amdhsa_user_sgpr_dispatch_ptr 0
		.amdhsa_user_sgpr_queue_ptr 0
		.amdhsa_user_sgpr_kernarg_segment_ptr 1
		.amdhsa_user_sgpr_dispatch_id 0
		.amdhsa_user_sgpr_flat_scratch_init 0
		.amdhsa_user_sgpr_kernarg_preload_length 0
		.amdhsa_user_sgpr_kernarg_preload_offset 0
		.amdhsa_user_sgpr_private_segment_size 0
		.amdhsa_uses_dynamic_stack 0
		.amdhsa_system_sgpr_private_segment_wavefront_offset 0
		.amdhsa_system_sgpr_workgroup_id_x 1
		.amdhsa_system_sgpr_workgroup_id_y 0
		.amdhsa_system_sgpr_workgroup_id_z 0
		.amdhsa_system_sgpr_workgroup_info 0
		.amdhsa_system_vgpr_workitem_id 0
		.amdhsa_next_free_vgpr 78
		.amdhsa_next_free_sgpr 24
		.amdhsa_accum_offset 80
		.amdhsa_reserve_vcc 1
		.amdhsa_reserve_flat_scratch 0
		.amdhsa_float_round_mode_32 0
		.amdhsa_float_round_mode_16_64 0
		.amdhsa_float_denorm_mode_32 3
		.amdhsa_float_denorm_mode_16_64 3
		.amdhsa_dx10_clamp 1
		.amdhsa_ieee_mode 1
		.amdhsa_fp16_overflow 0
		.amdhsa_tg_split 0
		.amdhsa_exception_fp_ieee_invalid_op 0
		.amdhsa_exception_fp_denorm_src 0
		.amdhsa_exception_fp_ieee_div_zero 0
		.amdhsa_exception_fp_ieee_overflow 0
		.amdhsa_exception_fp_ieee_underflow 0
		.amdhsa_exception_fp_ieee_inexact 0
		.amdhsa_exception_int_div_zero 0
	.end_amdhsa_kernel
	.text
.Lfunc_end1:
	.size	_Z6dslashPK11dsu3_matrixS1_S1_S1_PK11dsu3_vectorPS2_PKmS7_S7_S7_i, .Lfunc_end1-_Z6dslashPK11dsu3_matrixS1_S1_S1_PK11dsu3_vectorPS2_PKmS7_S7_S7_i
                                        ; -- End function
	.section	.AMDGPU.csdata,"",@progbits
; Kernel info:
; codeLenInByte = 9628
; NumSgprs: 28
; NumVgprs: 78
; NumAgprs: 0
; TotalNumVgprs: 78
; ScratchSize: 0
; MemoryBound: 0
; FloatMode: 240
; IeeeMode: 1
; LDSByteSize: 0 bytes/workgroup (compile time only)
; SGPRBlocks: 3
; VGPRBlocks: 9
; NumSGPRsForWavesPerEU: 28
; NumVGPRsForWavesPerEU: 78
; AccumOffset: 80
; Occupancy: 6
; WaveLimiterHint : 1
; COMPUTE_PGM_RSRC2:SCRATCH_EN: 0
; COMPUTE_PGM_RSRC2:USER_SGPR: 6
; COMPUTE_PGM_RSRC2:TRAP_HANDLER: 0
; COMPUTE_PGM_RSRC2:TGID_X_EN: 1
; COMPUTE_PGM_RSRC2:TGID_Y_EN: 0
; COMPUTE_PGM_RSRC2:TGID_Z_EN: 0
; COMPUTE_PGM_RSRC2:TIDIG_COMP_CNT: 0
; COMPUTE_PGM_RSRC3_GFX90A:ACCUM_OFFSET: 19
; COMPUTE_PGM_RSRC3_GFX90A:TG_SPLIT: 0
	.text
	.p2alignl 6, 3212836864
	.fill 256, 4, 3212836864
	.type	__hip_cuid_4b31f6358b699bd,@object ; @__hip_cuid_4b31f6358b699bd
	.section	.bss,"aw",@nobits
	.globl	__hip_cuid_4b31f6358b699bd
__hip_cuid_4b31f6358b699bd:
	.byte	0                               ; 0x0
	.size	__hip_cuid_4b31f6358b699bd, 1

	.ident	"AMD clang version 19.0.0git (https://github.com/RadeonOpenCompute/llvm-project roc-6.4.0 25133 c7fe45cf4b819c5991fe208aaa96edf142730f1d)"
	.section	".note.GNU-stack","",@progbits
	.addrsig
	.addrsig_sym __hip_cuid_4b31f6358b699bd
	.amdgpu_metadata
---
amdhsa.kernels:
  - .agpr_count:     0
    .args:
      - .actual_access:  read_only
        .address_space:  global
        .offset:         0
        .size:           8
        .value_kind:     global_buffer
      - .actual_access:  read_only
        .address_space:  global
        .offset:         8
        .size:           8
        .value_kind:     global_buffer
      - .actual_access:  read_only
        .address_space:  global
        .offset:         16
        .size:           8
        .value_kind:     global_buffer
      - .actual_access:  read_only
        .address_space:  global
        .offset:         24
        .size:           8
        .value_kind:     global_buffer
      - .actual_access:  write_only
        .address_space:  global
        .offset:         32
        .size:           8
        .value_kind:     global_buffer
      - .actual_access:  write_only
        .address_space:  global
        .offset:         40
        .size:           8
        .value_kind:     global_buffer
      - .offset:         48
        .size:           4
        .value_kind:     by_value
      - .offset:         56
        .size:           4
        .value_kind:     hidden_block_count_x
      - .offset:         60
        .size:           4
        .value_kind:     hidden_block_count_y
      - .offset:         64
        .size:           4
        .value_kind:     hidden_block_count_z
      - .offset:         68
        .size:           2
        .value_kind:     hidden_group_size_x
      - .offset:         70
        .size:           2
        .value_kind:     hidden_group_size_y
      - .offset:         72
        .size:           2
        .value_kind:     hidden_group_size_z
      - .offset:         74
        .size:           2
        .value_kind:     hidden_remainder_x
      - .offset:         76
        .size:           2
        .value_kind:     hidden_remainder_y
      - .offset:         78
        .size:           2
        .value_kind:     hidden_remainder_z
      - .offset:         96
        .size:           8
        .value_kind:     hidden_global_offset_x
      - .offset:         104
        .size:           8
        .value_kind:     hidden_global_offset_y
      - .offset:         112
        .size:           8
        .value_kind:     hidden_global_offset_z
      - .offset:         120
        .size:           2
        .value_kind:     hidden_grid_dims
    .group_segment_fixed_size: 0
    .kernarg_segment_align: 8
    .kernarg_segment_size: 312
    .language:       OpenCL C
    .language_version:
      - 2
      - 0
    .max_flat_workgroup_size: 1024
    .name:           _Z9make_backPK11dsu3_matrixS1_PKmS3_PS_S4_i
    .private_segment_fixed_size: 0
    .sgpr_count:     20
    .sgpr_spill_count: 0
    .symbol:         _Z9make_backPK11dsu3_matrixS1_PKmS3_PS_S4_i.kd
    .uniform_work_group_size: 1
    .uses_dynamic_stack: false
    .vgpr_count:     62
    .vgpr_spill_count: 0
    .wavefront_size: 64
  - .agpr_count:     0
    .args:
      - .actual_access:  read_only
        .address_space:  global
        .offset:         0
        .size:           8
        .value_kind:     global_buffer
      - .actual_access:  read_only
        .address_space:  global
        .offset:         8
        .size:           8
        .value_kind:     global_buffer
      - .actual_access:  read_only
        .address_space:  global
        .offset:         16
        .size:           8
        .value_kind:     global_buffer
      - .actual_access:  read_only
        .address_space:  global
        .offset:         24
        .size:           8
        .value_kind:     global_buffer
      - .actual_access:  read_only
        .address_space:  global
        .offset:         32
        .size:           8
        .value_kind:     global_buffer
      - .address_space:  global
        .offset:         40
        .size:           8
        .value_kind:     global_buffer
      - .actual_access:  read_only
        .address_space:  global
        .offset:         48
        .size:           8
        .value_kind:     global_buffer
      - .actual_access:  read_only
        .address_space:  global
        .offset:         56
        .size:           8
        .value_kind:     global_buffer
      - .actual_access:  read_only
        .address_space:  global
        .offset:         64
        .size:           8
        .value_kind:     global_buffer
      - .actual_access:  read_only
        .address_space:  global
        .offset:         72
        .size:           8
        .value_kind:     global_buffer
      - .offset:         80
        .size:           4
        .value_kind:     by_value
      - .offset:         88
        .size:           4
        .value_kind:     hidden_block_count_x
      - .offset:         92
        .size:           4
        .value_kind:     hidden_block_count_y
      - .offset:         96
        .size:           4
        .value_kind:     hidden_block_count_z
      - .offset:         100
        .size:           2
        .value_kind:     hidden_group_size_x
      - .offset:         102
        .size:           2
        .value_kind:     hidden_group_size_y
      - .offset:         104
        .size:           2
        .value_kind:     hidden_group_size_z
      - .offset:         106
        .size:           2
        .value_kind:     hidden_remainder_x
      - .offset:         108
        .size:           2
        .value_kind:     hidden_remainder_y
      - .offset:         110
        .size:           2
        .value_kind:     hidden_remainder_z
      - .offset:         128
        .size:           8
        .value_kind:     hidden_global_offset_x
      - .offset:         136
        .size:           8
        .value_kind:     hidden_global_offset_y
      - .offset:         144
        .size:           8
        .value_kind:     hidden_global_offset_z
      - .offset:         152
        .size:           2
        .value_kind:     hidden_grid_dims
    .group_segment_fixed_size: 0
    .kernarg_segment_align: 8
    .kernarg_segment_size: 344
    .language:       OpenCL C
    .language_version:
      - 2
      - 0
    .max_flat_workgroup_size: 1024
    .name:           _Z6dslashPK11dsu3_matrixS1_S1_S1_PK11dsu3_vectorPS2_PKmS7_S7_S7_i
    .private_segment_fixed_size: 0
    .sgpr_count:     28
    .sgpr_spill_count: 0
    .symbol:         _Z6dslashPK11dsu3_matrixS1_S1_S1_PK11dsu3_vectorPS2_PKmS7_S7_S7_i.kd
    .uniform_work_group_size: 1
    .uses_dynamic_stack: false
    .vgpr_count:     78
    .vgpr_spill_count: 0
    .wavefront_size: 64
amdhsa.target:   amdgcn-amd-amdhsa--gfx90a
amdhsa.version:
  - 1
  - 2
...

	.end_amdgpu_metadata
